;; amdgpu-corpus repo=ROCm/rocFFT kind=compiled arch=gfx1100 opt=O3
	.text
	.amdgcn_target "amdgcn-amd-amdhsa--gfx1100"
	.amdhsa_code_object_version 6
	.protected	fft_rtc_back_len2028_factors_13_4_3_13_wgs_156_tpt_156_dp_op_CI_CI_unitstride_sbrr_C2R_dirReg ; -- Begin function fft_rtc_back_len2028_factors_13_4_3_13_wgs_156_tpt_156_dp_op_CI_CI_unitstride_sbrr_C2R_dirReg
	.globl	fft_rtc_back_len2028_factors_13_4_3_13_wgs_156_tpt_156_dp_op_CI_CI_unitstride_sbrr_C2R_dirReg
	.p2align	8
	.type	fft_rtc_back_len2028_factors_13_4_3_13_wgs_156_tpt_156_dp_op_CI_CI_unitstride_sbrr_C2R_dirReg,@function
fft_rtc_back_len2028_factors_13_4_3_13_wgs_156_tpt_156_dp_op_CI_CI_unitstride_sbrr_C2R_dirReg: ; @fft_rtc_back_len2028_factors_13_4_3_13_wgs_156_tpt_156_dp_op_CI_CI_unitstride_sbrr_C2R_dirReg
; %bb.0:
	s_clause 0x2
	s_load_b128 s[8:11], s[0:1], 0x0
	s_load_b128 s[4:7], s[0:1], 0x58
	;; [unrolled: 1-line block ×3, first 2 shown]
	v_mul_u32_u24_e32 v1, 0x1a5, v0
	v_mov_b32_e32 v3, 0
	s_delay_alu instid0(VALU_DEP_2) | instskip(NEXT) | instid1(VALU_DEP_1)
	v_lshrrev_b32_e32 v1, 16, v1
	v_add_nc_u32_e32 v5, s15, v1
	v_mov_b32_e32 v1, 0
	v_mov_b32_e32 v2, 0
	;; [unrolled: 1-line block ×3, first 2 shown]
	s_waitcnt lgkmcnt(0)
	v_cmp_lt_u64_e64 s2, s[10:11], 2
	s_delay_alu instid0(VALU_DEP_1)
	s_and_b32 vcc_lo, exec_lo, s2
	s_cbranch_vccnz .LBB0_8
; %bb.1:
	s_load_b64 s[2:3], s[0:1], 0x10
	v_mov_b32_e32 v1, 0
	v_mov_b32_e32 v2, 0
	s_add_u32 s12, s18, 8
	s_addc_u32 s13, s19, 0
	s_add_u32 s14, s16, 8
	s_addc_u32 s15, s17, 0
	v_dual_mov_b32 v65, v2 :: v_dual_mov_b32 v64, v1
	s_mov_b64 s[22:23], 1
	s_waitcnt lgkmcnt(0)
	s_add_u32 s20, s2, 8
	s_addc_u32 s21, s3, 0
.LBB0_2:                                ; =>This Inner Loop Header: Depth=1
	s_load_b64 s[24:25], s[20:21], 0x0
                                        ; implicit-def: $vgpr68_vgpr69
	s_mov_b32 s2, exec_lo
	s_waitcnt lgkmcnt(0)
	v_or_b32_e32 v4, s25, v6
	s_delay_alu instid0(VALU_DEP_1)
	v_cmpx_ne_u64_e32 0, v[3:4]
	s_xor_b32 s3, exec_lo, s2
	s_cbranch_execz .LBB0_4
; %bb.3:                                ;   in Loop: Header=BB0_2 Depth=1
	v_cvt_f32_u32_e32 v4, s24
	v_cvt_f32_u32_e32 v7, s25
	s_sub_u32 s2, 0, s24
	s_subb_u32 s26, 0, s25
	s_delay_alu instid0(VALU_DEP_1) | instskip(NEXT) | instid1(VALU_DEP_1)
	v_fmac_f32_e32 v4, 0x4f800000, v7
	v_rcp_f32_e32 v4, v4
	s_waitcnt_depctr 0xfff
	v_mul_f32_e32 v4, 0x5f7ffffc, v4
	s_delay_alu instid0(VALU_DEP_1) | instskip(NEXT) | instid1(VALU_DEP_1)
	v_mul_f32_e32 v7, 0x2f800000, v4
	v_trunc_f32_e32 v7, v7
	s_delay_alu instid0(VALU_DEP_1) | instskip(SKIP_1) | instid1(VALU_DEP_2)
	v_fmac_f32_e32 v4, 0xcf800000, v7
	v_cvt_u32_f32_e32 v7, v7
	v_cvt_u32_f32_e32 v4, v4
	s_delay_alu instid0(VALU_DEP_2) | instskip(NEXT) | instid1(VALU_DEP_2)
	v_mul_lo_u32 v8, s2, v7
	v_mul_hi_u32 v9, s2, v4
	v_mul_lo_u32 v10, s26, v4
	s_delay_alu instid0(VALU_DEP_2) | instskip(SKIP_1) | instid1(VALU_DEP_2)
	v_add_nc_u32_e32 v8, v9, v8
	v_mul_lo_u32 v9, s2, v4
	v_add_nc_u32_e32 v8, v8, v10
	s_delay_alu instid0(VALU_DEP_2) | instskip(NEXT) | instid1(VALU_DEP_2)
	v_mul_hi_u32 v10, v4, v9
	v_mul_lo_u32 v11, v4, v8
	v_mul_hi_u32 v12, v4, v8
	v_mul_hi_u32 v13, v7, v9
	v_mul_lo_u32 v9, v7, v9
	v_mul_hi_u32 v14, v7, v8
	v_mul_lo_u32 v8, v7, v8
	v_add_co_u32 v10, vcc_lo, v10, v11
	v_add_co_ci_u32_e32 v11, vcc_lo, 0, v12, vcc_lo
	s_delay_alu instid0(VALU_DEP_2) | instskip(NEXT) | instid1(VALU_DEP_2)
	v_add_co_u32 v9, vcc_lo, v10, v9
	v_add_co_ci_u32_e32 v9, vcc_lo, v11, v13, vcc_lo
	v_add_co_ci_u32_e32 v10, vcc_lo, 0, v14, vcc_lo
	s_delay_alu instid0(VALU_DEP_2) | instskip(NEXT) | instid1(VALU_DEP_2)
	v_add_co_u32 v8, vcc_lo, v9, v8
	v_add_co_ci_u32_e32 v9, vcc_lo, 0, v10, vcc_lo
	s_delay_alu instid0(VALU_DEP_2) | instskip(NEXT) | instid1(VALU_DEP_2)
	v_add_co_u32 v4, vcc_lo, v4, v8
	v_add_co_ci_u32_e32 v7, vcc_lo, v7, v9, vcc_lo
	s_delay_alu instid0(VALU_DEP_2) | instskip(SKIP_1) | instid1(VALU_DEP_3)
	v_mul_hi_u32 v8, s2, v4
	v_mul_lo_u32 v10, s26, v4
	v_mul_lo_u32 v9, s2, v7
	s_delay_alu instid0(VALU_DEP_1) | instskip(SKIP_1) | instid1(VALU_DEP_2)
	v_add_nc_u32_e32 v8, v8, v9
	v_mul_lo_u32 v9, s2, v4
	v_add_nc_u32_e32 v8, v8, v10
	s_delay_alu instid0(VALU_DEP_2) | instskip(NEXT) | instid1(VALU_DEP_2)
	v_mul_hi_u32 v10, v4, v9
	v_mul_lo_u32 v11, v4, v8
	v_mul_hi_u32 v12, v4, v8
	v_mul_hi_u32 v13, v7, v9
	v_mul_lo_u32 v9, v7, v9
	v_mul_hi_u32 v14, v7, v8
	v_mul_lo_u32 v8, v7, v8
	v_add_co_u32 v10, vcc_lo, v10, v11
	v_add_co_ci_u32_e32 v11, vcc_lo, 0, v12, vcc_lo
	s_delay_alu instid0(VALU_DEP_2) | instskip(NEXT) | instid1(VALU_DEP_2)
	v_add_co_u32 v9, vcc_lo, v10, v9
	v_add_co_ci_u32_e32 v9, vcc_lo, v11, v13, vcc_lo
	v_add_co_ci_u32_e32 v10, vcc_lo, 0, v14, vcc_lo
	s_delay_alu instid0(VALU_DEP_2) | instskip(NEXT) | instid1(VALU_DEP_2)
	v_add_co_u32 v8, vcc_lo, v9, v8
	v_add_co_ci_u32_e32 v9, vcc_lo, 0, v10, vcc_lo
	s_delay_alu instid0(VALU_DEP_2) | instskip(NEXT) | instid1(VALU_DEP_2)
	v_add_co_u32 v4, vcc_lo, v4, v8
	v_add_co_ci_u32_e32 v13, vcc_lo, v7, v9, vcc_lo
	s_delay_alu instid0(VALU_DEP_2) | instskip(SKIP_1) | instid1(VALU_DEP_3)
	v_mul_hi_u32 v14, v5, v4
	v_mad_u64_u32 v[9:10], null, v6, v4, 0
	v_mad_u64_u32 v[7:8], null, v5, v13, 0
	;; [unrolled: 1-line block ×3, first 2 shown]
	s_delay_alu instid0(VALU_DEP_2) | instskip(NEXT) | instid1(VALU_DEP_3)
	v_add_co_u32 v4, vcc_lo, v14, v7
	v_add_co_ci_u32_e32 v7, vcc_lo, 0, v8, vcc_lo
	s_delay_alu instid0(VALU_DEP_2) | instskip(NEXT) | instid1(VALU_DEP_2)
	v_add_co_u32 v4, vcc_lo, v4, v9
	v_add_co_ci_u32_e32 v4, vcc_lo, v7, v10, vcc_lo
	v_add_co_ci_u32_e32 v7, vcc_lo, 0, v12, vcc_lo
	s_delay_alu instid0(VALU_DEP_2) | instskip(NEXT) | instid1(VALU_DEP_2)
	v_add_co_u32 v4, vcc_lo, v4, v11
	v_add_co_ci_u32_e32 v9, vcc_lo, 0, v7, vcc_lo
	s_delay_alu instid0(VALU_DEP_2) | instskip(SKIP_1) | instid1(VALU_DEP_3)
	v_mul_lo_u32 v10, s25, v4
	v_mad_u64_u32 v[7:8], null, s24, v4, 0
	v_mul_lo_u32 v11, s24, v9
	s_delay_alu instid0(VALU_DEP_2) | instskip(NEXT) | instid1(VALU_DEP_2)
	v_sub_co_u32 v7, vcc_lo, v5, v7
	v_add3_u32 v8, v8, v11, v10
	s_delay_alu instid0(VALU_DEP_1) | instskip(NEXT) | instid1(VALU_DEP_1)
	v_sub_nc_u32_e32 v10, v6, v8
	v_subrev_co_ci_u32_e64 v10, s2, s25, v10, vcc_lo
	v_add_co_u32 v11, s2, v4, 2
	s_delay_alu instid0(VALU_DEP_1) | instskip(SKIP_3) | instid1(VALU_DEP_3)
	v_add_co_ci_u32_e64 v12, s2, 0, v9, s2
	v_sub_co_u32 v13, s2, v7, s24
	v_sub_co_ci_u32_e32 v8, vcc_lo, v6, v8, vcc_lo
	v_subrev_co_ci_u32_e64 v10, s2, 0, v10, s2
	v_cmp_le_u32_e32 vcc_lo, s24, v13
	s_delay_alu instid0(VALU_DEP_3) | instskip(SKIP_1) | instid1(VALU_DEP_4)
	v_cmp_eq_u32_e64 s2, s25, v8
	v_cndmask_b32_e64 v13, 0, -1, vcc_lo
	v_cmp_le_u32_e32 vcc_lo, s25, v10
	v_cndmask_b32_e64 v14, 0, -1, vcc_lo
	v_cmp_le_u32_e32 vcc_lo, s24, v7
	;; [unrolled: 2-line block ×3, first 2 shown]
	v_cndmask_b32_e64 v15, 0, -1, vcc_lo
	v_cmp_eq_u32_e32 vcc_lo, s25, v10
	s_delay_alu instid0(VALU_DEP_2) | instskip(SKIP_3) | instid1(VALU_DEP_3)
	v_cndmask_b32_e64 v7, v15, v7, s2
	v_cndmask_b32_e32 v10, v14, v13, vcc_lo
	v_add_co_u32 v13, vcc_lo, v4, 1
	v_add_co_ci_u32_e32 v14, vcc_lo, 0, v9, vcc_lo
	v_cmp_ne_u32_e32 vcc_lo, 0, v10
	s_delay_alu instid0(VALU_DEP_2) | instskip(NEXT) | instid1(VALU_DEP_4)
	v_cndmask_b32_e32 v8, v14, v12, vcc_lo
	v_cndmask_b32_e32 v10, v13, v11, vcc_lo
	v_cmp_ne_u32_e32 vcc_lo, 0, v7
	s_delay_alu instid0(VALU_DEP_2)
	v_dual_cndmask_b32 v69, v9, v8 :: v_dual_cndmask_b32 v68, v4, v10
.LBB0_4:                                ;   in Loop: Header=BB0_2 Depth=1
	s_and_not1_saveexec_b32 s2, s3
	s_cbranch_execz .LBB0_6
; %bb.5:                                ;   in Loop: Header=BB0_2 Depth=1
	v_cvt_f32_u32_e32 v4, s24
	s_sub_i32 s3, 0, s24
	v_mov_b32_e32 v69, v3
	s_delay_alu instid0(VALU_DEP_2) | instskip(SKIP_2) | instid1(VALU_DEP_1)
	v_rcp_iflag_f32_e32 v4, v4
	s_waitcnt_depctr 0xfff
	v_mul_f32_e32 v4, 0x4f7ffffe, v4
	v_cvt_u32_f32_e32 v4, v4
	s_delay_alu instid0(VALU_DEP_1) | instskip(NEXT) | instid1(VALU_DEP_1)
	v_mul_lo_u32 v7, s3, v4
	v_mul_hi_u32 v7, v4, v7
	s_delay_alu instid0(VALU_DEP_1) | instskip(NEXT) | instid1(VALU_DEP_1)
	v_add_nc_u32_e32 v4, v4, v7
	v_mul_hi_u32 v4, v5, v4
	s_delay_alu instid0(VALU_DEP_1) | instskip(SKIP_1) | instid1(VALU_DEP_2)
	v_mul_lo_u32 v7, v4, s24
	v_add_nc_u32_e32 v8, 1, v4
	v_sub_nc_u32_e32 v7, v5, v7
	s_delay_alu instid0(VALU_DEP_1) | instskip(SKIP_1) | instid1(VALU_DEP_2)
	v_subrev_nc_u32_e32 v9, s24, v7
	v_cmp_le_u32_e32 vcc_lo, s24, v7
	v_dual_cndmask_b32 v7, v7, v9 :: v_dual_cndmask_b32 v4, v4, v8
	s_delay_alu instid0(VALU_DEP_1) | instskip(NEXT) | instid1(VALU_DEP_2)
	v_cmp_le_u32_e32 vcc_lo, s24, v7
	v_add_nc_u32_e32 v8, 1, v4
	s_delay_alu instid0(VALU_DEP_1)
	v_cndmask_b32_e32 v68, v4, v8, vcc_lo
.LBB0_6:                                ;   in Loop: Header=BB0_2 Depth=1
	s_or_b32 exec_lo, exec_lo, s2
	s_delay_alu instid0(VALU_DEP_1) | instskip(NEXT) | instid1(VALU_DEP_2)
	v_mul_lo_u32 v4, v69, s24
	v_mul_lo_u32 v9, v68, s25
	s_load_b64 s[2:3], s[14:15], 0x0
	v_mad_u64_u32 v[7:8], null, v68, s24, 0
	s_load_b64 s[24:25], s[12:13], 0x0
	s_add_u32 s22, s22, 1
	s_addc_u32 s23, s23, 0
	s_add_u32 s12, s12, 8
	s_addc_u32 s13, s13, 0
	s_add_u32 s14, s14, 8
	s_delay_alu instid0(VALU_DEP_1) | instskip(SKIP_3) | instid1(VALU_DEP_2)
	v_add3_u32 v4, v8, v9, v4
	v_sub_co_u32 v8, vcc_lo, v5, v7
	s_addc_u32 s15, s15, 0
	s_add_u32 s20, s20, 8
	v_sub_co_ci_u32_e32 v6, vcc_lo, v6, v4, vcc_lo
	s_addc_u32 s21, s21, 0
	s_waitcnt lgkmcnt(0)
	s_delay_alu instid0(VALU_DEP_1)
	v_mul_lo_u32 v9, s2, v6
	v_mul_lo_u32 v10, s3, v8
	v_mad_u64_u32 v[4:5], null, s2, v8, v[1:2]
	v_mul_lo_u32 v11, s24, v6
	v_mul_lo_u32 v12, s25, v8
	v_mad_u64_u32 v[6:7], null, s24, v8, v[64:65]
	v_cmp_ge_u64_e64 s2, s[22:23], s[10:11]
	v_add3_u32 v2, v10, v5, v9
	s_delay_alu instid0(VALU_DEP_3) | instskip(NEXT) | instid1(VALU_DEP_4)
	v_dual_mov_b32 v1, v4 :: v_dual_mov_b32 v64, v6
	v_add3_u32 v65, v12, v7, v11
	s_delay_alu instid0(VALU_DEP_4)
	s_and_b32 vcc_lo, exec_lo, s2
	s_cbranch_vccnz .LBB0_9
; %bb.7:                                ;   in Loop: Header=BB0_2 Depth=1
	v_dual_mov_b32 v5, v68 :: v_dual_mov_b32 v6, v69
	s_branch .LBB0_2
.LBB0_8:
	v_dual_mov_b32 v65, v2 :: v_dual_mov_b32 v64, v1
	v_dual_mov_b32 v69, v6 :: v_dual_mov_b32 v68, v5
.LBB0_9:
	s_load_b64 s[0:1], s[0:1], 0x28
	v_mul_hi_u32 v3, 0x1a41a42, v0
	s_lshl_b64 s[10:11], s[10:11], 3
                                        ; implicit-def: $vgpr66
	s_delay_alu instid0(SALU_CYCLE_1) | instskip(SKIP_4) | instid1(VALU_DEP_1)
	s_add_u32 s2, s18, s10
	s_addc_u32 s3, s19, s11
	s_waitcnt lgkmcnt(0)
	v_cmp_gt_u64_e32 vcc_lo, s[0:1], v[68:69]
	v_cmp_le_u64_e64 s0, s[0:1], v[68:69]
	s_and_saveexec_b32 s1, s0
	s_delay_alu instid0(SALU_CYCLE_1)
	s_xor_b32 s0, exec_lo, s1
; %bb.10:
	v_mul_u32_u24_e32 v1, 0x9c, v3
                                        ; implicit-def: $vgpr3
	s_delay_alu instid0(VALU_DEP_1)
	v_sub_nc_u32_e32 v66, v0, v1
                                        ; implicit-def: $vgpr0
                                        ; implicit-def: $vgpr1_vgpr2
; %bb.11:
	s_or_saveexec_b32 s1, s0
	s_load_b64 s[2:3], s[2:3], 0x0
	s_xor_b32 exec_lo, exec_lo, s1
	s_cbranch_execz .LBB0_15
; %bb.12:
	s_add_u32 s10, s16, s10
	s_addc_u32 s11, s17, s11
	v_lshlrev_b64 v[1:2], 4, v[1:2]
	s_load_b64 s[10:11], s[10:11], 0x0
	s_waitcnt lgkmcnt(0)
	v_mul_lo_u32 v6, s11, v68
	v_mul_lo_u32 v7, s10, v69
	v_mad_u64_u32 v[4:5], null, s10, v68, 0
	s_delay_alu instid0(VALU_DEP_1) | instskip(SKIP_1) | instid1(VALU_DEP_2)
	v_add3_u32 v5, v5, v7, v6
	v_mul_u32_u24_e32 v6, 0x9c, v3
	v_lshlrev_b64 v[3:4], 4, v[4:5]
	s_delay_alu instid0(VALU_DEP_2) | instskip(NEXT) | instid1(VALU_DEP_1)
	v_sub_nc_u32_e32 v66, v0, v6
	v_lshlrev_b32_e32 v54, 4, v66
	s_delay_alu instid0(VALU_DEP_3) | instskip(NEXT) | instid1(VALU_DEP_1)
	v_add_co_u32 v0, s0, s4, v3
	v_add_co_ci_u32_e64 v3, s0, s5, v4, s0
	s_mov_b32 s4, exec_lo
	s_delay_alu instid0(VALU_DEP_2) | instskip(NEXT) | instid1(VALU_DEP_1)
	v_add_co_u32 v0, s0, v0, v1
	v_add_co_ci_u32_e64 v1, s0, v3, v2, s0
	s_delay_alu instid0(VALU_DEP_2) | instskip(NEXT) | instid1(VALU_DEP_1)
	v_add_co_u32 v10, s0, v0, v54
	v_add_co_ci_u32_e64 v11, s0, 0, v1, s0
	s_clause 0x1
	global_load_b128 v[2:5], v[10:11], off
	global_load_b128 v[6:9], v[10:11], off offset:2496
	v_add_co_u32 v14, s0, 0x1000, v10
	s_delay_alu instid0(VALU_DEP_1) | instskip(SKIP_1) | instid1(VALU_DEP_1)
	v_add_co_ci_u32_e64 v15, s0, 0, v11, s0
	v_add_co_u32 v18, s0, 0x2000, v10
	v_add_co_ci_u32_e64 v19, s0, 0, v11, s0
	v_add_co_u32 v26, s0, 0x3000, v10
	s_delay_alu instid0(VALU_DEP_1) | instskip(SKIP_1) | instid1(VALU_DEP_1)
	v_add_co_ci_u32_e64 v27, s0, 0, v11, s0
	v_add_co_u32 v34, s0, 0x4000, v10
	v_add_co_ci_u32_e64 v35, s0, 0, v11, s0
	;; [unrolled: 5-line block ×3, first 2 shown]
	v_add_co_u32 v50, s0, 0x7000, v10
	s_delay_alu instid0(VALU_DEP_1)
	v_add_co_ci_u32_e64 v51, s0, 0, v11, s0
	s_clause 0xa
	global_load_b128 v[10:13], v[14:15], off offset:896
	global_load_b128 v[14:17], v[14:15], off offset:3392
	;; [unrolled: 1-line block ×11, first 2 shown]
	v_add_nc_u32_e32 v54, 0, v54
	s_waitcnt vmcnt(12)
	ds_store_b128 v54, v[2:5]
	s_waitcnt vmcnt(11)
	ds_store_b128 v54, v[6:9] offset:2496
	s_waitcnt vmcnt(10)
	ds_store_b128 v54, v[10:13] offset:4992
	;; [unrolled: 2-line block ×12, first 2 shown]
	v_cmpx_eq_u32_e32 0x9b, v66
	s_cbranch_execz .LBB0_14
; %bb.13:
	v_add_co_u32 v0, s0, 0x7000, v0
	s_delay_alu instid0(VALU_DEP_1)
	v_add_co_ci_u32_e64 v1, s0, 0, v1, s0
	v_mov_b32_e32 v4, 0
	v_mov_b32_e32 v66, 0x9b
	global_load_b128 v[0:3], v[0:1], off offset:3776
	s_waitcnt vmcnt(0)
	ds_store_b128 v4, v[0:3] offset:32448
.LBB0_14:
	s_or_b32 exec_lo, exec_lo, s4
.LBB0_15:
	s_delay_alu instid0(SALU_CYCLE_1)
	s_or_b32 exec_lo, exec_lo, s1
	v_lshlrev_b32_e32 v0, 4, v66
	s_waitcnt lgkmcnt(0)
	s_barrier
	buffer_gl0_inv
	s_add_u32 s1, s8, 0x7df0
	v_add_nc_u32_e32 v100, 0, v0
	v_sub_nc_u32_e32 v10, 0, v0
	s_addc_u32 s4, s9, 0
	s_mov_b32 s5, exec_lo
                                        ; implicit-def: $vgpr4_vgpr5
	ds_load_b64 v[6:7], v100
	ds_load_b64 v[8:9], v10 offset:32448
	s_waitcnt lgkmcnt(0)
	v_add_f64 v[0:1], v[6:7], v[8:9]
	v_add_f64 v[2:3], v[6:7], -v[8:9]
	v_cmpx_ne_u32_e32 0, v66
	s_xor_b32 s5, exec_lo, s5
	s_cbranch_execz .LBB0_17
; %bb.16:
	v_mov_b32_e32 v67, 0
	v_add_f64 v[13:14], v[6:7], v[8:9]
	v_add_f64 v[15:16], v[6:7], -v[8:9]
	s_delay_alu instid0(VALU_DEP_3) | instskip(NEXT) | instid1(VALU_DEP_1)
	v_lshlrev_b64 v[0:1], 4, v[66:67]
	v_add_co_u32 v0, s0, s1, v0
	s_delay_alu instid0(VALU_DEP_1)
	v_add_co_ci_u32_e64 v1, s0, s4, v1, s0
	global_load_b128 v[2:5], v[0:1], off
	ds_load_b64 v[0:1], v10 offset:32456
	ds_load_b64 v[11:12], v100 offset:8
	s_waitcnt lgkmcnt(0)
	v_add_f64 v[6:7], v[0:1], v[11:12]
	v_add_f64 v[0:1], v[11:12], -v[0:1]
	s_waitcnt vmcnt(0)
	v_fma_f64 v[8:9], v[15:16], v[4:5], v[13:14]
	v_fma_f64 v[11:12], -v[15:16], v[4:5], v[13:14]
	s_delay_alu instid0(VALU_DEP_3) | instskip(SKIP_1) | instid1(VALU_DEP_4)
	v_fma_f64 v[13:14], v[6:7], v[4:5], -v[0:1]
	v_fma_f64 v[4:5], v[6:7], v[4:5], v[0:1]
	v_fma_f64 v[0:1], -v[6:7], v[2:3], v[8:9]
	s_delay_alu instid0(VALU_DEP_4) | instskip(NEXT) | instid1(VALU_DEP_4)
	v_fma_f64 v[6:7], v[6:7], v[2:3], v[11:12]
	v_fma_f64 v[8:9], v[15:16], v[2:3], v[13:14]
	s_delay_alu instid0(VALU_DEP_4)
	v_fma_f64 v[2:3], v[15:16], v[2:3], v[4:5]
	v_dual_mov_b32 v4, v66 :: v_dual_mov_b32 v5, v67
	ds_store_b128 v10, v[6:9] offset:32448
.LBB0_17:
	s_and_not1_saveexec_b32 s0, s5
	s_cbranch_execz .LBB0_19
; %bb.18:
	v_mov_b32_e32 v8, 0
	ds_load_b128 v[4:7], v8 offset:16224
	s_waitcnt lgkmcnt(0)
	v_add_f64 v[11:12], v[4:5], v[4:5]
	v_mul_f64 v[13:14], v[6:7], -2.0
	v_mov_b32_e32 v4, 0
	v_mov_b32_e32 v5, 0
	ds_store_b128 v8, v[11:14] offset:16224
.LBB0_19:
	s_or_b32 exec_lo, exec_lo, s0
	v_lshlrev_b64 v[4:5], 4, v[4:5]
	ds_store_b128 v100, v[0:3]
	v_add_co_u32 v23, s0, s1, v4
	s_delay_alu instid0(VALU_DEP_1) | instskip(SKIP_1) | instid1(VALU_DEP_2)
	v_add_co_ci_u32_e64 v24, s0, s4, v5, s0
	s_mov_b32 s1, exec_lo
	v_add_co_u32 v8, s0, 0x1000, v23
	global_load_b128 v[4:7], v[23:24], off offset:2496
	v_add_co_ci_u32_e64 v9, s0, 0, v24, s0
	global_load_b128 v[11:14], v[8:9], off offset:896
	ds_load_b128 v[0:3], v100 offset:2496
	ds_load_b128 v[15:18], v10 offset:29952
	global_load_b128 v[19:22], v[8:9], off offset:3392
	s_waitcnt lgkmcnt(0)
	v_add_f64 v[8:9], v[0:1], v[15:16]
	v_add_f64 v[25:26], v[17:18], v[2:3]
	v_add_f64 v[15:16], v[0:1], -v[15:16]
	v_add_f64 v[0:1], v[2:3], -v[17:18]
	s_waitcnt vmcnt(2)
	s_delay_alu instid0(VALU_DEP_2) | instskip(NEXT) | instid1(VALU_DEP_2)
	v_fma_f64 v[2:3], v[15:16], v[6:7], v[8:9]
	v_fma_f64 v[17:18], v[25:26], v[6:7], v[0:1]
	v_fma_f64 v[8:9], -v[15:16], v[6:7], v[8:9]
	v_fma_f64 v[27:28], v[25:26], v[6:7], -v[0:1]
	s_delay_alu instid0(VALU_DEP_4) | instskip(NEXT) | instid1(VALU_DEP_4)
	v_fma_f64 v[0:1], -v[25:26], v[4:5], v[2:3]
	v_fma_f64 v[2:3], v[15:16], v[4:5], v[17:18]
	s_delay_alu instid0(VALU_DEP_4) | instskip(NEXT) | instid1(VALU_DEP_4)
	v_fma_f64 v[6:7], v[25:26], v[4:5], v[8:9]
	v_fma_f64 v[8:9], v[15:16], v[4:5], v[27:28]
	ds_store_b128 v100, v[0:3] offset:2496
	ds_store_b128 v10, v[6:9] offset:29952
	ds_load_b128 v[0:3], v100 offset:4992
	ds_load_b128 v[4:7], v10 offset:27456
	v_add_co_u32 v8, s0, 0x2000, v23
	s_delay_alu instid0(VALU_DEP_1)
	v_add_co_ci_u32_e64 v9, s0, 0, v24, s0
	global_load_b128 v[15:18], v[8:9], off offset:1792
	s_waitcnt lgkmcnt(0)
	v_add_f64 v[8:9], v[0:1], v[4:5]
	v_add_f64 v[25:26], v[6:7], v[2:3]
	v_add_f64 v[27:28], v[0:1], -v[4:5]
	v_add_f64 v[0:1], v[2:3], -v[6:7]
	s_waitcnt vmcnt(2)
	s_delay_alu instid0(VALU_DEP_2) | instskip(NEXT) | instid1(VALU_DEP_2)
	v_fma_f64 v[2:3], v[27:28], v[13:14], v[8:9]
	v_fma_f64 v[4:5], v[25:26], v[13:14], v[0:1]
	v_fma_f64 v[6:7], -v[27:28], v[13:14], v[8:9]
	v_fma_f64 v[8:9], v[25:26], v[13:14], -v[0:1]
	s_delay_alu instid0(VALU_DEP_4) | instskip(NEXT) | instid1(VALU_DEP_4)
	v_fma_f64 v[0:1], -v[25:26], v[11:12], v[2:3]
	v_fma_f64 v[2:3], v[27:28], v[11:12], v[4:5]
	s_delay_alu instid0(VALU_DEP_4) | instskip(NEXT) | instid1(VALU_DEP_4)
	v_fma_f64 v[4:5], v[25:26], v[11:12], v[6:7]
	v_fma_f64 v[6:7], v[27:28], v[11:12], v[8:9]
	ds_store_b128 v100, v[0:3] offset:4992
	ds_store_b128 v10, v[4:7] offset:27456
	ds_load_b128 v[2:5], v100 offset:7488
	ds_load_b128 v[6:9], v10 offset:24960
	v_add_co_u32 v0, s0, 0x3000, v23
	s_delay_alu instid0(VALU_DEP_1)
	v_add_co_ci_u32_e64 v1, s0, 0, v24, s0
	global_load_b128 v[11:14], v[0:1], off offset:192
	s_waitcnt lgkmcnt(0)
	v_add_f64 v[23:24], v[2:3], v[6:7]
	v_add_f64 v[25:26], v[8:9], v[4:5]
	v_add_f64 v[27:28], v[2:3], -v[6:7]
	v_add_f64 v[2:3], v[4:5], -v[8:9]
	s_waitcnt vmcnt(2)
	s_delay_alu instid0(VALU_DEP_2) | instskip(NEXT) | instid1(VALU_DEP_2)
	v_fma_f64 v[4:5], v[27:28], v[21:22], v[23:24]
	v_fma_f64 v[6:7], v[25:26], v[21:22], v[2:3]
	v_fma_f64 v[8:9], -v[27:28], v[21:22], v[23:24]
	v_fma_f64 v[21:22], v[25:26], v[21:22], -v[2:3]
	s_delay_alu instid0(VALU_DEP_4) | instskip(NEXT) | instid1(VALU_DEP_4)
	v_fma_f64 v[2:3], -v[25:26], v[19:20], v[4:5]
	v_fma_f64 v[4:5], v[27:28], v[19:20], v[6:7]
	s_delay_alu instid0(VALU_DEP_4) | instskip(NEXT) | instid1(VALU_DEP_4)
	v_fma_f64 v[6:7], v[25:26], v[19:20], v[8:9]
	v_fma_f64 v[8:9], v[27:28], v[19:20], v[21:22]
	ds_store_b128 v100, v[2:5] offset:7488
	ds_store_b128 v10, v[6:9] offset:24960
	ds_load_b128 v[2:5], v100 offset:9984
	ds_load_b128 v[6:9], v10 offset:22464
	s_waitcnt lgkmcnt(0)
	v_add_f64 v[19:20], v[2:3], v[6:7]
	v_add_f64 v[21:22], v[8:9], v[4:5]
	v_add_f64 v[23:24], v[2:3], -v[6:7]
	v_add_f64 v[2:3], v[4:5], -v[8:9]
	s_waitcnt vmcnt(1)
	s_delay_alu instid0(VALU_DEP_2) | instskip(NEXT) | instid1(VALU_DEP_2)
	v_fma_f64 v[4:5], v[23:24], v[17:18], v[19:20]
	v_fma_f64 v[6:7], v[21:22], v[17:18], v[2:3]
	v_fma_f64 v[8:9], -v[23:24], v[17:18], v[19:20]
	v_fma_f64 v[17:18], v[21:22], v[17:18], -v[2:3]
	s_delay_alu instid0(VALU_DEP_4) | instskip(NEXT) | instid1(VALU_DEP_4)
	v_fma_f64 v[2:3], -v[21:22], v[15:16], v[4:5]
	v_fma_f64 v[4:5], v[23:24], v[15:16], v[6:7]
	s_delay_alu instid0(VALU_DEP_4) | instskip(NEXT) | instid1(VALU_DEP_4)
	v_fma_f64 v[6:7], v[21:22], v[15:16], v[8:9]
	v_fma_f64 v[8:9], v[23:24], v[15:16], v[17:18]
	ds_store_b128 v100, v[2:5] offset:9984
	ds_store_b128 v10, v[6:9] offset:22464
	ds_load_b128 v[2:5], v100 offset:12480
	ds_load_b128 v[6:9], v10 offset:19968
	s_waitcnt lgkmcnt(0)
	v_add_f64 v[15:16], v[2:3], v[6:7]
	v_add_f64 v[17:18], v[8:9], v[4:5]
	v_add_f64 v[19:20], v[2:3], -v[6:7]
	v_add_f64 v[2:3], v[4:5], -v[8:9]
	s_waitcnt vmcnt(0)
	s_delay_alu instid0(VALU_DEP_2) | instskip(NEXT) | instid1(VALU_DEP_2)
	v_fma_f64 v[4:5], v[19:20], v[13:14], v[15:16]
	v_fma_f64 v[6:7], v[17:18], v[13:14], v[2:3]
	v_fma_f64 v[8:9], -v[19:20], v[13:14], v[15:16]
	v_fma_f64 v[13:14], v[17:18], v[13:14], -v[2:3]
	s_delay_alu instid0(VALU_DEP_4) | instskip(NEXT) | instid1(VALU_DEP_4)
	v_fma_f64 v[2:3], -v[17:18], v[11:12], v[4:5]
	v_fma_f64 v[4:5], v[19:20], v[11:12], v[6:7]
	s_delay_alu instid0(VALU_DEP_4) | instskip(NEXT) | instid1(VALU_DEP_4)
	v_fma_f64 v[6:7], v[17:18], v[11:12], v[8:9]
	v_fma_f64 v[8:9], v[19:20], v[11:12], v[13:14]
	ds_store_b128 v100, v[2:5] offset:12480
	ds_store_b128 v10, v[6:9] offset:19968
	v_cmpx_gt_u32_e32 0x4e, v66
	s_cbranch_execz .LBB0_21
; %bb.20:
	global_load_b128 v[0:3], v[0:1], off offset:2688
	ds_load_b128 v[4:7], v100 offset:14976
	ds_load_b128 v[11:14], v10 offset:17472
	s_waitcnt lgkmcnt(0)
	v_add_f64 v[8:9], v[4:5], v[11:12]
	v_add_f64 v[15:16], v[13:14], v[6:7]
	v_add_f64 v[11:12], v[4:5], -v[11:12]
	v_add_f64 v[4:5], v[6:7], -v[13:14]
	s_waitcnt vmcnt(0)
	s_delay_alu instid0(VALU_DEP_2) | instskip(NEXT) | instid1(VALU_DEP_2)
	v_fma_f64 v[6:7], v[11:12], v[2:3], v[8:9]
	v_fma_f64 v[13:14], v[15:16], v[2:3], v[4:5]
	v_fma_f64 v[8:9], -v[11:12], v[2:3], v[8:9]
	v_fma_f64 v[17:18], v[15:16], v[2:3], -v[4:5]
	s_delay_alu instid0(VALU_DEP_4) | instskip(NEXT) | instid1(VALU_DEP_4)
	v_fma_f64 v[2:3], -v[15:16], v[0:1], v[6:7]
	v_fma_f64 v[4:5], v[11:12], v[0:1], v[13:14]
	s_delay_alu instid0(VALU_DEP_4) | instskip(NEXT) | instid1(VALU_DEP_4)
	v_fma_f64 v[6:7], v[15:16], v[0:1], v[8:9]
	v_fma_f64 v[8:9], v[11:12], v[0:1], v[17:18]
	ds_store_b128 v100, v[2:5] offset:14976
	ds_store_b128 v10, v[6:9] offset:17472
.LBB0_21:
	s_or_b32 exec_lo, exec_lo, s1
	s_waitcnt lgkmcnt(0)
	s_barrier
	buffer_gl0_inv
	s_barrier
	buffer_gl0_inv
	ds_load_b128 v[16:19], v100
	ds_load_b128 v[36:39], v100 offset:2496
	ds_load_b128 v[44:47], v100 offset:4992
	;; [unrolled: 1-line block ×12, first 2 shown]
	s_mov_b32 s20, 0x4267c47c
	s_mov_b32 s12, 0xe00740e9
	;; [unrolled: 1-line block ×18, first 2 shown]
	s_waitcnt lgkmcnt(11)
	v_add_f64 v[52:53], v[16:17], v[36:37]
	v_add_f64 v[54:55], v[18:19], v[38:39]
	s_waitcnt lgkmcnt(1)
	v_add_f64 v[70:71], v[50:51], -v[10:11]
	v_add_f64 v[72:73], v[50:51], v[10:11]
	v_add_f64 v[56:57], v[38:39], -v[2:3]
	v_add_f64 v[58:59], v[38:39], v[2:3]
	s_mov_b32 s30, 0xb2365da1
	s_mov_b32 s31, 0xbfd6b1d8
	;; [unrolled: 1-line block ×3, first 2 shown]
	s_waitcnt lgkmcnt(0)
	v_add_f64 v[60:61], v[46:47], -v[6:7]
	v_add_f64 v[62:63], v[46:47], v[6:7]
	v_add_f64 v[84:85], v[36:37], v[0:1]
	v_add_f64 v[86:87], v[36:37], -v[0:1]
	s_mov_b32 s37, 0xbfe7f3cc
	s_mov_b32 s38, 0x93053d00
	;; [unrolled: 1-line block ×3, first 2 shown]
	v_add_f64 v[78:79], v[34:35], -v[22:23]
	v_add_f64 v[80:81], v[34:35], v[22:23]
	v_add_f64 v[88:89], v[44:45], v[4:5]
	v_add_f64 v[90:91], v[44:45], -v[4:5]
	s_mov_b32 s1, 0x3fddbe06
	s_mov_b32 s11, 0x3fea55e2
	;; [unrolled: 1-line block ×11, first 2 shown]
	v_add_f64 v[82:83], v[30:31], -v[26:27]
	s_mov_b32 s40, s34
	v_add_f64 v[38:39], v[28:29], v[24:25]
	v_add_f64 v[36:37], v[28:29], -v[24:25]
	v_add_f64 v[74:75], v[42:43], -v[14:15]
	v_add_f64 v[76:77], v[42:43], v[14:15]
	v_add_f64 v[92:93], v[48:49], v[8:9]
	v_add_f64 v[52:53], v[52:53], v[44:45]
	v_add_f64 v[54:55], v[54:55], v[46:47]
	v_add_f64 v[46:47], v[32:33], v[20:21]
	v_add_f64 v[44:45], v[32:33], -v[20:21]
	v_mul_f64 v[98:99], v[56:57], s[20:21]
	v_mul_f64 v[101:102], v[56:57], s[4:5]
	;; [unrolled: 1-line block ×24, first 2 shown]
	v_add_f64 v[94:95], v[48:49], -v[8:9]
	v_mul_f64 v[129:130], v[72:73], s[24:25]
	v_mul_f64 v[145:146], v[70:71], s[34:35]
	;; [unrolled: 1-line block ×9, first 2 shown]
	v_add_f64 v[52:53], v[52:53], v[48:49]
	v_add_f64 v[50:51], v[54:55], v[50:51]
	;; [unrolled: 1-line block ×3, first 2 shown]
	v_mul_f64 v[187:188], v[72:73], s[12:13]
	v_fma_f64 v[199:200], v[84:85], s[12:13], v[98:99]
	v_fma_f64 v[98:99], v[84:85], s[12:13], -v[98:99]
	v_fma_f64 v[201:202], v[84:85], s[18:19], v[101:102]
	v_fma_f64 v[101:102], v[84:85], s[18:19], -v[101:102]
	v_fma_f64 v[203:204], v[84:85], s[24:25], v[103:104]
	v_fma_f64 v[103:104], v[84:85], s[24:25], -v[103:104]
	v_fma_f64 v[205:206], v[84:85], s[30:31], v[105:106]
	v_fma_f64 v[105:106], v[84:85], s[30:31], -v[105:106]
	v_fma_f64 v[207:208], v[84:85], s[36:37], v[107:108]
	v_fma_f64 v[107:108], v[84:85], s[36:37], -v[107:108]
	v_fma_f64 v[209:210], v[84:85], s[38:39], v[109:110]
	v_fma_f64 v[84:85], v[84:85], s[38:39], -v[109:110]
	v_fma_f64 v[109:110], v[86:87], s[0:1], v[111:112]
	v_fma_f64 v[211:212], v[86:87], s[10:11], v[113:114]
	;; [unrolled: 1-line block ×18, first 2 shown]
	v_fma_f64 v[123:124], v[88:89], s[18:19], -v[123:124]
	v_fma_f64 v[141:142], v[88:89], s[30:31], -v[141:142]
	;; [unrolled: 1-line block ×3, first 2 shown]
	v_fma_f64 v[245:246], v[88:89], s[36:37], v[175:176]
	v_add_f64 v[133:134], v[52:53], v[40:41]
	v_add_f64 v[135:136], v[50:51], v[42:43]
	v_fma_f64 v[175:176], v[88:89], s[36:37], -v[175:176]
	v_fma_f64 v[247:248], v[88:89], s[24:25], v[177:178]
	v_add_f64 v[199:200], v[16:17], v[199:200]
	v_fma_f64 v[177:178], v[88:89], s[24:25], -v[177:178]
	v_add_f64 v[201:202], v[16:17], v[201:202]
	v_fma_f64 v[249:250], v[88:89], s[12:13], v[60:61]
	v_add_f64 v[203:204], v[16:17], v[203:204]
	v_fma_f64 v[60:61], v[88:89], s[12:13], -v[60:61]
	v_fma_f64 v[88:89], v[90:91], s[4:5], v[125:126]
	v_fma_f64 v[125:126], v[90:91], s[22:23], v[143:144]
	;; [unrolled: 1-line block ×5, first 2 shown]
	v_add_f64 v[98:99], v[16:17], v[98:99]
	v_add_f64 v[109:110], v[18:19], v[109:110]
	;; [unrolled: 1-line block ×10, first 2 shown]
	v_mul_f64 v[189:190], v[72:73], s[18:19]
	v_fma_f64 v[251:252], v[90:91], s[14:15], v[181:182]
	v_fma_f64 v[181:182], v[90:91], s[16:17], v[181:182]
	v_add_f64 v[207:208], v[16:17], v[207:208]
	v_add_f64 v[217:218], v[18:19], v[217:218]
	;; [unrolled: 1-line block ×4, first 2 shown]
	v_mul_f64 v[72:73], v[72:73], s[36:37]
	v_fma_f64 v[253:254], v[90:91], s[20:21], v[62:63]
	v_add_f64 v[105:106], v[16:17], v[105:106]
	v_add_f64 v[209:210], v[16:17], v[209:210]
	;; [unrolled: 1-line block ×3, first 2 shown]
	v_fma_f64 v[62:63], v[90:91], s[0:1], v[62:63]
	v_add_f64 v[32:33], v[133:134], v[32:33]
	v_add_f64 v[34:35], v[135:136], v[34:35]
	;; [unrolled: 1-line block ×7, first 2 shown]
	v_add_f64 v[48:49], v[40:41], -v[12:13]
	v_mul_f64 v[149:150], v[74:75], s[42:43]
	v_mul_f64 v[151:152], v[76:77], s[36:37]
	v_fma_f64 v[229:230], v[92:93], s[38:39], v[145:146]
	v_fma_f64 v[231:232], v[94:95], s[40:41], v[147:148]
	v_add_f64 v[201:202], v[225:226], v[201:202]
	v_mul_f64 v[165:166], v[74:75], s[0:1]
	v_mul_f64 v[167:168], v[76:77], s[12:13]
	v_fma_f64 v[239:240], v[92:93], s[30:31], v[161:162]
	v_add_f64 v[109:110], v[221:222], v[109:110]
	v_add_f64 v[211:212], v[227:228], v[211:212]
	v_fma_f64 v[241:242], v[94:95], s[22:23], v[163:164]
	v_add_f64 v[121:122], v[121:122], v[199:200]
	v_add_f64 v[203:204], v[235:236], v[203:204]
	;; [unrolled: 1-line block ×3, first 2 shown]
	v_mul_f64 v[131:132], v[74:75], s[22:23]
	v_mul_f64 v[133:134], v[74:75], s[14:15]
	v_mul_f64 v[135:136], v[74:75], s[40:41]
	v_mul_f64 v[74:75], v[74:75], s[10:11]
	v_mul_f64 v[191:192], v[76:77], s[24:25]
	v_fma_f64 v[90:91], v[92:93], s[24:25], -v[127:128]
	v_add_f64 v[98:99], v[123:124], v[98:99]
	v_add_f64 v[101:102], v[141:142], v[101:102]
	;; [unrolled: 1-line block ×7, first 2 shown]
	v_mul_f64 v[193:194], v[76:77], s[38:39]
	v_fma_f64 v[84:85], v[94:95], s[10:11], v[189:190]
	v_fma_f64 v[86:87], v[94:95], s[4:5], v[189:190]
	v_add_f64 v[28:29], v[32:33], v[28:29]
	v_add_f64 v[30:31], v[34:35], v[30:31]
	v_fma_f64 v[34:35], v[94:95], s[16:17], v[129:130]
	v_fma_f64 v[32:33], v[92:93], s[24:25], v[127:128]
	v_fma_f64 v[127:128], v[92:93], s[38:39], -v[145:146]
	v_fma_f64 v[145:146], v[92:93], s[30:31], -v[161:162]
	v_fma_f64 v[161:162], v[92:93], s[12:13], v[183:184]
	v_fma_f64 v[183:184], v[92:93], s[12:13], -v[183:184]
	v_add_f64 v[207:208], v[247:248], v[207:208]
	v_add_f64 v[217:218], v[251:252], v[217:218]
	;; [unrolled: 1-line block ×4, first 2 shown]
	v_mul_f64 v[137:138], v[76:77], s[30:31]
	v_mul_f64 v[76:77], v[76:77], s[18:19]
	v_fma_f64 v[189:190], v[94:95], s[42:43], v[72:73]
	v_add_f64 v[105:106], v[175:176], v[105:106]
	v_add_f64 v[209:210], v[249:250], v[209:210]
	;; [unrolled: 1-line block ×3, first 2 shown]
	v_fma_f64 v[72:73], v[94:95], s[28:29], v[72:73]
	v_add_f64 v[16:17], v[60:61], v[16:17]
	v_add_f64 v[18:19], v[62:63], v[18:19]
	;; [unrolled: 1-line block ×4, first 2 shown]
	v_mul_f64 v[153:154], v[78:79], s[16:17]
	v_mul_f64 v[155:156], v[80:81], s[24:25]
	v_fma_f64 v[233:234], v[96:97], s[36:37], v[149:150]
	v_fma_f64 v[245:246], v[48:49], s[28:29], v[151:152]
	v_add_f64 v[111:112], v[231:232], v[211:212]
	v_mul_f64 v[169:170], v[78:79], s[4:5]
	v_mul_f64 v[171:172], v[80:81], s[18:19]
	v_fma_f64 v[243:244], v[96:97], s[12:13], v[165:166]
	v_fma_f64 v[251:252], v[48:49], s[20:21], v[167:168]
	v_add_f64 v[115:116], v[239:240], v[203:204]
	v_mul_f64 v[139:140], v[78:79], s[28:29]
	v_mul_f64 v[195:196], v[78:79], s[40:41]
	;; [unrolled: 1-line block ×4, first 2 shown]
	v_fma_f64 v[223:224], v[96:97], s[30:31], v[131:132]
	v_add_f64 v[24:25], v[28:29], v[24:25]
	v_add_f64 v[26:27], v[30:31], v[26:27]
	v_fma_f64 v[28:29], v[92:93], s[18:19], v[185:186]
	v_fma_f64 v[30:31], v[92:93], s[18:19], -v[185:186]
	v_fma_f64 v[185:186], v[92:93], s[36:37], v[70:71]
	v_fma_f64 v[70:71], v[92:93], s[36:37], -v[70:71]
	v_fma_f64 v[92:93], v[94:95], s[14:15], v[129:130]
	v_fma_f64 v[129:130], v[94:95], s[34:35], v[147:148]
	v_fma_f64 v[147:148], v[94:95], s[26:27], v[163:164]
	v_fma_f64 v[163:164], v[94:95], s[20:21], v[187:188]
	v_fma_f64 v[187:188], v[94:95], s[0:1], v[187:188]
	v_add_f64 v[34:35], v[34:35], v[109:110]
	v_add_f64 v[109:110], v[229:230], v[201:202]
	;; [unrolled: 1-line block ×4, first 2 shown]
	v_fma_f64 v[94:95], v[96:97], s[30:31], -v[131:132]
	v_fma_f64 v[131:132], v[96:97], s[36:37], -v[149:150]
	;; [unrolled: 1-line block ×3, first 2 shown]
	v_fma_f64 v[165:166], v[96:97], s[24:25], v[133:134]
	v_fma_f64 v[133:134], v[96:97], s[24:25], -v[133:134]
	v_fma_f64 v[151:152], v[48:49], s[42:43], v[151:152]
	v_add_f64 v[90:91], v[90:91], v[98:99]
	v_add_f64 v[98:99], v[127:128], v[101:102]
	;; [unrolled: 1-line block ×3, first 2 shown]
	v_mul_f64 v[199:200], v[80:81], s[12:13]
	v_fma_f64 v[60:61], v[48:49], s[0:1], v[167:168]
	v_fma_f64 v[143:144], v[48:49], s[34:35], v[193:194]
	;; [unrolled: 1-line block ×3, first 2 shown]
	v_add_f64 v[84:85], v[84:85], v[217:218]
	v_add_f64 v[86:87], v[86:87], v[119:120]
	v_mul_f64 v[52:53], v[80:81], s[36:37]
	v_add_f64 v[105:106], v[183:184], v[105:106]
	v_add_f64 v[145:146], v[189:190], v[219:220]
	v_fma_f64 v[237:238], v[48:49], s[26:27], v[137:138]
	v_fma_f64 v[137:138], v[48:49], s[22:23], v[137:138]
	v_add_f64 v[18:19], v[72:73], v[18:19]
	v_mul_f64 v[56:57], v[82:83], s[0:1]
	v_mul_f64 v[50:51], v[54:55], s[12:13]
	v_add_f64 v[20:21], v[24:25], v[20:21]
	v_add_f64 v[22:23], v[26:27], v[22:23]
	v_fma_f64 v[24:25], v[96:97], s[38:39], v[135:136]
	v_fma_f64 v[26:27], v[96:97], s[38:39], -v[135:136]
	v_fma_f64 v[135:136], v[96:97], s[18:19], v[74:75]
	v_fma_f64 v[74:75], v[96:97], s[18:19], -v[74:75]
	v_mul_f64 v[96:97], v[80:81], s[38:39]
	v_add_f64 v[101:102], v[129:130], v[113:114]
	v_add_f64 v[113:114], v[161:162], v[205:206]
	;; [unrolled: 1-line block ×6, first 2 shown]
	v_mul_f64 v[80:81], v[80:81], s[30:31]
	v_add_f64 v[119:120], v[185:186], v[209:210]
	v_add_f64 v[16:17], v[70:71], v[16:17]
	;; [unrolled: 1-line block ×4, first 2 shown]
	v_fma_f64 v[215:216], v[46:47], s[24:25], v[153:154]
	v_fma_f64 v[175:176], v[44:45], s[14:15], v[155:156]
	v_add_f64 v[88:89], v[233:234], v[109:110]
	v_add_f64 v[92:93], v[245:246], v[111:112]
	v_mul_f64 v[173:174], v[82:83], s[28:29]
	v_mul_f64 v[58:59], v[54:55], s[36:37]
	v_fma_f64 v[177:178], v[46:47], s[18:19], v[169:170]
	v_fma_f64 v[181:182], v[44:45], s[10:11], v[171:172]
	v_add_f64 v[109:110], v[243:244], v[115:116]
	v_add_f64 v[111:112], v[251:252], v[121:122]
	v_mul_f64 v[42:43], v[82:83], s[34:35]
	v_mul_f64 v[40:41], v[54:55], s[38:39]
	;; [unrolled: 1-line block ×8, first 2 shown]
	v_fma_f64 v[123:124], v[46:47], s[36:37], v[139:140]
	v_fma_f64 v[107:108], v[46:47], s[38:39], v[195:196]
	v_add_f64 v[12:13], v[20:21], v[12:13]
	v_add_f64 v[14:15], v[22:23], v[14:15]
	v_fma_f64 v[20:21], v[48:49], s[16:17], v[191:192]
	v_fma_f64 v[22:23], v[48:49], s[14:15], v[191:192]
	;; [unrolled: 1-line block ×4, first 2 shown]
	v_fma_f64 v[76:77], v[46:47], s[36:37], -v[139:140]
	v_fma_f64 v[139:140], v[46:47], s[24:25], -v[153:154]
	;; [unrolled: 1-line block ×4, first 2 shown]
	v_fma_f64 v[70:71], v[46:47], s[12:13], v[197:198]
	v_add_f64 v[32:33], v[223:224], v[32:33]
	v_fma_f64 v[121:122], v[44:45], s[34:35], v[96:97]
	v_fma_f64 v[96:97], v[44:45], s[40:41], v[96:97]
	v_add_f64 v[90:91], v[94:95], v[90:91]
	v_add_f64 v[94:95], v[131:132], v[98:99]
	;; [unrolled: 1-line block ×5, first 2 shown]
	v_fma_f64 v[147:148], v[44:45], s[20:21], v[199:200]
	v_add_f64 v[24:25], v[24:25], v[28:29]
	v_add_f64 v[28:29], v[143:144], v[84:85]
	;; [unrolled: 1-line block ×3, first 2 shown]
	v_fma_f64 v[30:31], v[44:45], s[0:1], v[199:200]
	v_add_f64 v[84:85], v[167:168], v[86:87]
	v_add_f64 v[105:106], v[133:134], v[105:106]
	;; [unrolled: 1-line block ×3, first 2 shown]
	v_fma_f64 v[113:114], v[44:45], s[26:27], v[80:81]
	v_fma_f64 v[141:142], v[44:45], s[42:43], v[52:53]
	;; [unrolled: 1-line block ×4, first 2 shown]
	v_add_f64 v[16:17], v[74:75], v[16:17]
	v_add_f64 v[34:35], v[237:238], v[34:35]
	;; [unrolled: 1-line block ×3, first 2 shown]
	v_fma_f64 v[179:180], v[38:39], s[12:13], v[56:57]
	v_fma_f64 v[247:248], v[36:37], s[20:21], v[50:51]
	v_add_f64 v[72:73], v[175:176], v[92:93]
	v_fma_f64 v[249:250], v[38:39], s[36:37], v[173:174]
	v_add_f64 v[8:9], v[12:13], v[8:9]
	v_add_f64 v[10:11], v[14:15], v[10:11]
	v_fma_f64 v[12:13], v[46:47], s[12:13], -v[197:198]
	v_fma_f64 v[14:15], v[46:47], s[30:31], v[78:79]
	v_fma_f64 v[46:47], v[46:47], s[30:31], -v[78:79]
	v_fma_f64 v[78:79], v[44:45], s[16:17], v[155:156]
	v_add_f64 v[20:21], v[20:21], v[127:128]
	v_add_f64 v[22:23], v[22:23], v[117:118]
	;; [unrolled: 1-line block ×3, first 2 shown]
	v_fma_f64 v[44:45], v[44:45], s[22:23], v[80:81]
	v_add_f64 v[18:19], v[48:49], v[18:19]
	v_add_f64 v[48:49], v[137:138], v[62:63]
	;; [unrolled: 1-line block ×3, first 2 shown]
	v_fma_f64 v[253:254], v[36:37], s[42:43], v[58:59]
	v_add_f64 v[74:75], v[177:178], v[109:110]
	v_add_f64 v[80:81], v[181:182], v[111:112]
	v_fma_f64 v[125:126], v[38:39], s[38:39], v[42:43]
	v_add_f64 v[32:33], v[123:124], v[32:33]
	v_fma_f64 v[42:43], v[38:39], s[38:39], -v[42:43]
	v_fma_f64 v[56:57], v[38:39], s[12:13], -v[56:57]
	;; [unrolled: 1-line block ×3, first 2 shown]
	v_fma_f64 v[92:93], v[38:39], s[18:19], v[221:222]
	v_fma_f64 v[109:110], v[38:39], s[18:19], -v[221:222]
	v_fma_f64 v[111:112], v[38:39], s[30:31], v[225:226]
	v_fma_f64 v[119:120], v[38:39], s[30:31], -v[225:226]
	;; [unrolled: 2-line block ×3, first 2 shown]
	v_add_f64 v[38:39], v[76:77], v[90:91]
	v_add_f64 v[76:77], v[139:140], v[94:95]
	;; [unrolled: 1-line block ×6, first 2 shown]
	v_fma_f64 v[30:31], v[36:37], s[26:27], v[227:228]
	v_add_f64 v[90:91], v[153:154], v[101:102]
	v_add_f64 v[101:102], v[129:130], v[105:106]
	v_fma_f64 v[107:108], v[36:37], s[14:15], v[235:236]
	v_fma_f64 v[157:158], v[36:37], s[40:41], v[40:41]
	v_add_f64 v[4:5], v[8:9], v[4:5]
	v_add_f64 v[34:35], v[141:142], v[34:35]
	;; [unrolled: 1-line block ×8, first 2 shown]
	v_fma_f64 v[22:23], v[36:37], s[4:5], v[54:55]
	v_add_f64 v[105:106], v[113:114], v[117:118]
	v_add_f64 v[44:45], v[44:45], v[18:19]
	v_fma_f64 v[113:114], v[36:37], s[16:17], v[235:236]
	v_fma_f64 v[117:118], v[36:37], s[22:23], v[227:228]
	;; [unrolled: 1-line block ×3, first 2 shown]
	v_add_f64 v[6:7], v[10:11], v[6:7]
	v_add_f64 v[60:61], v[115:116], v[60:61]
	v_fma_f64 v[58:59], v[36:37], s[28:29], v[58:59]
	v_fma_f64 v[115:116], v[36:37], s[0:1], v[50:51]
	;; [unrolled: 1-line block ×3, first 2 shown]
	v_add_f64 v[52:53], v[52:53], v[48:49]
	v_add_f64 v[12:13], v[179:180], v[62:63]
	;; [unrolled: 1-line block ×6, first 2 shown]
	s_barrier
	buffer_gl0_inv
	v_cmp_gt_u32_e64 s0, 39, v66
	v_add_f64 v[20:21], v[92:93], v[94:95]
	v_add_f64 v[28:29], v[111:112], v[70:71]
                                        ; implicit-def: $vgpr62_vgpr63
	v_add_f64 v[30:31], v[30:31], v[103:104]
	v_add_f64 v[48:49], v[88:89], v[90:91]
	;; [unrolled: 1-line block ×18, first 2 shown]
                                        ; implicit-def: $vgpr54_vgpr55
                                        ; implicit-def: $vgpr58_vgpr59
	v_add_f64 v[2:3], v[121:122], v[52:53]
	v_mad_u32_u24 v52, 0xc0, v66, v100
	ds_store_b128 v52, v[12:15] offset:32
	ds_store_b128 v52, v[16:19] offset:48
	;; [unrolled: 1-line block ×8, first 2 shown]
	ds_store_b128 v52, v[4:7]
	ds_store_b128 v52, v[8:11] offset:16
	ds_store_b128 v52, v[48:51] offset:160
	;; [unrolled: 1-line block ×4, first 2 shown]
	s_waitcnt lgkmcnt(0)
	s_barrier
	buffer_gl0_inv
	ds_load_b128 v[4:7], v100
	ds_load_b128 v[8:11], v100 offset:2496
	ds_load_b128 v[32:35], v100 offset:16224
	;; [unrolled: 1-line block ×11, first 2 shown]
	s_and_saveexec_b32 s1, s0
	s_cbranch_execz .LBB0_23
; %bb.22:
	ds_load_b128 v[0:3], v100 offset:7488
	ds_load_b128 v[52:55], v100 offset:15600
	;; [unrolled: 1-line block ×4, first 2 shown]
.LBB0_23:
	s_or_b32 exec_lo, exec_lo, s1
	v_and_b32_e32 v70, 0xff, v66
	v_add_nc_u32_e32 v67, 0x9c, v66
	v_add_nc_u32_e32 v71, 0x138, v66
	s_delay_alu instid0(VALU_DEP_3) | instskip(NEXT) | instid1(VALU_DEP_3)
	v_mul_lo_u16 v72, 0x4f, v70
	v_and_b32_e32 v73, 0xffff, v67
	v_add_nc_u32_e32 v70, 0x1d4, v66
	s_delay_alu instid0(VALU_DEP_4) | instskip(NEXT) | instid1(VALU_DEP_4)
	v_and_b32_e32 v74, 0xffff, v71
	v_lshrrev_b16 v151, 10, v72
	s_delay_alu instid0(VALU_DEP_4) | instskip(NEXT) | instid1(VALU_DEP_4)
	v_mul_u32_u24_e32 v73, 0x4ec5, v73
	v_and_b32_e32 v76, 0xffff, v70
	s_delay_alu instid0(VALU_DEP_4) | instskip(NEXT) | instid1(VALU_DEP_4)
	v_mul_u32_u24_e32 v75, 0x4ec5, v74
	v_mul_lo_u16 v77, v151, 13
	s_delay_alu instid0(VALU_DEP_4) | instskip(NEXT) | instid1(VALU_DEP_4)
	v_lshrrev_b32_e32 v152, 18, v73
	v_mul_u32_u24_e32 v74, 0x4ec5, v76
	s_delay_alu instid0(VALU_DEP_4) | instskip(NEXT) | instid1(VALU_DEP_4)
	v_lshrrev_b32_e32 v153, 18, v75
	v_sub_nc_u16 v77, v66, v77
	s_delay_alu instid0(VALU_DEP_4) | instskip(NEXT) | instid1(VALU_DEP_4)
	v_mul_lo_u16 v78, v152, 13
	v_lshrrev_b32_e32 v76, 18, v74
	s_delay_alu instid0(VALU_DEP_3) | instskip(NEXT) | instid1(VALU_DEP_3)
	v_and_b32_e32 v154, 0xff, v77
	v_sub_nc_u16 v77, v67, v78
	v_mul_lo_u16 v78, v153, 13
	s_delay_alu instid0(VALU_DEP_4) | instskip(NEXT) | instid1(VALU_DEP_4)
	v_mul_lo_u16 v79, v76, 13
	v_mul_u32_u24_e32 v80, 3, v154
	s_delay_alu instid0(VALU_DEP_4) | instskip(NEXT) | instid1(VALU_DEP_4)
	v_and_b32_e32 v155, 0xffff, v77
	v_sub_nc_u16 v77, v71, v78
	s_delay_alu instid0(VALU_DEP_4) | instskip(NEXT) | instid1(VALU_DEP_4)
	v_sub_nc_u16 v78, v70, v79
	v_lshlrev_b32_e32 v86, 4, v80
	s_delay_alu instid0(VALU_DEP_4) | instskip(NEXT) | instid1(VALU_DEP_4)
	v_mul_u32_u24_e32 v87, 3, v155
	v_and_b32_e32 v156, 0xffff, v77
	s_delay_alu instid0(VALU_DEP_4)
	v_and_b32_e32 v77, 0xffff, v78
	s_clause 0x1
	global_load_b128 v[78:81], v86, s[8:9] offset:16
	global_load_b128 v[82:85], v86, s[8:9]
	v_lshlrev_b32_e32 v98, 4, v87
	v_mul_u32_u24_e32 v94, 3, v156
	v_mul_u32_u24_e32 v99, 3, v77
	s_clause 0x1
	global_load_b128 v[86:89], v86, s[8:9] offset:32
	global_load_b128 v[90:93], v98, s[8:9]
	v_lshlrev_b32_e32 v113, 4, v94
	s_clause 0x2
	global_load_b128 v[94:97], v98, s[8:9] offset:16
	global_load_b128 v[101:104], v98, s[8:9] offset:32
	global_load_b128 v[105:108], v113, s[8:9]
	v_lshlrev_b32_e32 v98, 4, v99
	s_clause 0x4
	global_load_b128 v[109:112], v113, s[8:9] offset:16
	global_load_b128 v[113:116], v113, s[8:9] offset:32
	global_load_b128 v[117:120], v98, s[8:9]
	global_load_b128 v[121:124], v98, s[8:9] offset:16
	global_load_b128 v[125:128], v98, s[8:9] offset:32
	s_waitcnt vmcnt(0) lgkmcnt(0)
	s_barrier
	buffer_gl0_inv
	v_mul_f64 v[129:130], v[34:35], v[80:81]
	v_mul_f64 v[98:99], v[46:47], v[84:85]
	;; [unrolled: 1-line block ×24, first 2 shown]
	v_fma_f64 v[32:33], v[32:33], v[78:79], v[129:130]
	v_fma_f64 v[44:45], v[44:45], v[82:83], v[98:99]
	v_fma_f64 v[46:47], v[46:47], v[82:83], -v[84:85]
	v_fma_f64 v[34:35], v[34:35], v[78:79], -v[80:81]
	v_fma_f64 v[48:49], v[48:49], v[86:87], v[131:132]
	v_fma_f64 v[50:51], v[50:51], v[86:87], -v[88:89]
	v_fma_f64 v[36:37], v[36:37], v[90:91], v[133:134]
	v_fma_f64 v[38:39], v[38:39], v[90:91], -v[92:93]
	v_fma_f64 v[16:17], v[16:17], v[94:95], v[135:136]
	v_fma_f64 v[18:19], v[18:19], v[94:95], -v[96:97]
	v_fma_f64 v[40:41], v[40:41], v[101:102], v[137:138]
	v_fma_f64 v[42:43], v[42:43], v[101:102], -v[103:104]
	v_fma_f64 v[20:21], v[20:21], v[105:106], v[139:140]
	v_fma_f64 v[22:23], v[22:23], v[105:106], -v[107:108]
	v_fma_f64 v[24:25], v[24:25], v[109:110], v[141:142]
	v_fma_f64 v[26:27], v[26:27], v[109:110], -v[111:112]
	v_fma_f64 v[28:29], v[28:29], v[113:114], v[143:144]
	v_fma_f64 v[30:31], v[30:31], v[113:114], -v[115:116]
	v_fma_f64 v[52:53], v[52:53], v[117:118], v[145:146]
	v_fma_f64 v[54:55], v[54:55], v[117:118], -v[119:120]
	v_fma_f64 v[56:57], v[56:57], v[121:122], v[147:148]
	v_fma_f64 v[58:59], v[58:59], v[121:122], -v[123:124]
	v_fma_f64 v[60:61], v[60:61], v[125:126], v[149:150]
	v_fma_f64 v[62:63], v[62:63], v[125:126], -v[127:128]
	v_add_f64 v[78:79], v[4:5], -v[32:33]
	v_add_f64 v[80:81], v[6:7], -v[34:35]
	;; [unrolled: 1-line block ×16, first 2 shown]
	v_fma_f64 v[60:61], v[4:5], 2.0, -v[78:79]
	v_fma_f64 v[62:63], v[6:7], 2.0, -v[80:81]
	;; [unrolled: 1-line block ×4, first 2 shown]
	v_add_f64 v[16:17], v[78:79], v[34:35]
	v_add_f64 v[18:19], v[80:81], -v[32:33]
	v_fma_f64 v[8:9], v[8:9], 2.0, -v[48:49]
	v_fma_f64 v[10:11], v[10:11], 2.0, -v[50:51]
	v_fma_f64 v[36:37], v[36:37], 2.0, -v[40:41]
	v_fma_f64 v[38:39], v[38:39], 2.0, -v[42:43]
	v_fma_f64 v[92:93], v[12:13], 2.0, -v[82:83]
	v_fma_f64 v[94:95], v[14:15], 2.0, -v[84:85]
	v_fma_f64 v[12:13], v[20:21], 2.0, -v[86:87]
	v_fma_f64 v[14:15], v[22:23], 2.0, -v[28:29]
	v_add_f64 v[20:21], v[48:49], v[42:43]
	v_add_f64 v[22:23], v[50:51], -v[40:41]
	v_fma_f64 v[0:1], v[0:1], 2.0, -v[88:89]
	v_fma_f64 v[2:3], v[2:3], 2.0, -v[90:91]
	;; [unrolled: 1-line block ×4, first 2 shown]
	v_add_f64 v[28:29], v[82:83], v[28:29]
	v_add_f64 v[30:31], v[84:85], -v[86:87]
	v_add_f64 v[24:25], v[60:61], -v[4:5]
	;; [unrolled: 1-line block ×3, first 2 shown]
	v_fma_f64 v[40:41], v[78:79], 2.0, -v[16:17]
	v_fma_f64 v[42:43], v[80:81], 2.0, -v[18:19]
	v_and_b32_e32 v78, 0xffff, v151
	v_lshlrev_b32_e32 v81, 4, v154
	v_add_f64 v[32:33], v[8:9], -v[36:37]
	v_add_f64 v[34:35], v[10:11], -v[38:39]
	v_mul_u32_u24_e32 v79, 0x340, v152
	v_mul_u32_u24_e32 v78, 0x340, v78
	;; [unrolled: 1-line block ×3, first 2 shown]
	v_add_f64 v[36:37], v[92:93], -v[12:13]
	v_add_f64 v[38:39], v[94:95], -v[14:15]
	v_add_f64 v[12:13], v[88:89], v[58:59]
	v_add_f64 v[14:15], v[90:91], -v[56:57]
	v_add3_u32 v78, 0, v78, v81
	v_add_f64 v[4:5], v[0:1], -v[44:45]
	v_add_f64 v[6:7], v[2:3], -v[46:47]
	v_fma_f64 v[44:45], v[48:49], 2.0, -v[20:21]
	v_fma_f64 v[46:47], v[50:51], 2.0, -v[22:23]
	;; [unrolled: 1-line block ×4, first 2 shown]
	v_lshlrev_b32_e32 v82, 4, v155
	v_lshlrev_b32_e32 v83, 4, v156
	s_delay_alu instid0(VALU_DEP_2) | instskip(NEXT) | instid1(VALU_DEP_2)
	v_add3_u32 v79, 0, v79, v82
	v_add3_u32 v80, 0, v80, v83
	v_fma_f64 v[48:49], v[60:61], 2.0, -v[24:25]
	v_fma_f64 v[50:51], v[62:63], 2.0, -v[26:27]
	;; [unrolled: 1-line block ×8, first 2 shown]
	ds_store_b128 v78, v[24:27] offset:416
	ds_store_b128 v78, v[16:19] offset:624
	ds_store_b128 v78, v[48:51]
	ds_store_b128 v78, v[40:43] offset:208
	ds_store_b128 v79, v[32:35] offset:416
	;; [unrolled: 1-line block ×3, first 2 shown]
	ds_store_b128 v79, v[56:59]
	ds_store_b128 v79, v[44:47] offset:208
	ds_store_b128 v80, v[60:63]
	ds_store_b128 v80, v[52:55] offset:208
	ds_store_b128 v80, v[36:39] offset:416
	;; [unrolled: 1-line block ×3, first 2 shown]
	v_fma_f64 v[0:1], v[0:1], 2.0, -v[4:5]
	v_fma_f64 v[2:3], v[2:3], 2.0, -v[6:7]
	s_and_saveexec_b32 s1, s0
	s_cbranch_execz .LBB0_25
; %bb.24:
	v_mul_lo_u16 v16, v76, 52
	v_lshlrev_b32_e32 v17, 4, v77
	s_delay_alu instid0(VALU_DEP_2) | instskip(NEXT) | instid1(VALU_DEP_1)
	v_and_b32_e32 v16, 0xffff, v16
	v_lshlrev_b32_e32 v16, 4, v16
	s_delay_alu instid0(VALU_DEP_1)
	v_add3_u32 v16, 0, v17, v16
	ds_store_b128 v16, v[0:3]
	ds_store_b128 v16, v[8:11] offset:208
	ds_store_b128 v16, v[4:7] offset:416
	;; [unrolled: 1-line block ×3, first 2 shown]
.LBB0_25:
	s_or_b32 exec_lo, exec_lo, s1
	s_waitcnt lgkmcnt(0)
	s_barrier
	buffer_gl0_inv
	ds_load_b128 v[20:23], v100
	ds_load_b128 v[16:19], v100 offset:2496
	ds_load_b128 v[44:47], v100 offset:10816
	;; [unrolled: 1-line block ×11, first 2 shown]
	v_cmp_gt_u32_e64 s0, 52, v66
	s_delay_alu instid0(VALU_DEP_1)
	s_and_saveexec_b32 s1, s0
	s_cbranch_execz .LBB0_27
; %bb.26:
	ds_load_b128 v[0:3], v100 offset:9984
	ds_load_b128 v[8:11], v100 offset:20800
	;; [unrolled: 1-line block ×3, first 2 shown]
.LBB0_27:
	s_or_b32 exec_lo, exec_lo, s1
	v_lshrrev_b16 v115, 12, v72
	v_lshrrev_b32_e32 v116, 20, v73
	v_lshrrev_b32_e32 v117, 20, v75
	v_lshrrev_b32_e32 v118, 20, v74
	s_mov_b32 s4, 0xe8584caa
	v_mul_lo_u16 v60, v115, 52
	v_mul_lo_u16 v61, v116, 52
	;; [unrolled: 1-line block ×3, first 2 shown]
	s_mov_b32 s5, 0xbfebb67a
	s_mov_b32 s11, 0x3febb67a
	v_sub_nc_u16 v60, v66, v60
	v_sub_nc_u16 v61, v67, v61
	;; [unrolled: 1-line block ×3, first 2 shown]
	s_mov_b32 s10, s4
	s_delay_alu instid0(VALU_DEP_3) | instskip(SKIP_3) | instid1(VALU_DEP_4)
	v_and_b32_e32 v67, 0xff, v60
	v_mul_lo_u16 v60, v118, 52
	v_and_b32_e32 v119, 0xffff, v61
	v_and_b32_e32 v120, 0xffff, v62
	v_lshlrev_b32_e32 v71, 5, v67
	s_delay_alu instid0(VALU_DEP_4) | instskip(NEXT) | instid1(VALU_DEP_4)
	v_sub_nc_u16 v74, v70, v60
	v_lshlrev_b32_e32 v78, 5, v119
	s_delay_alu instid0(VALU_DEP_4)
	v_lshlrev_b32_e32 v86, 5, v120
	v_lshlrev_b32_e32 v67, 4, v67
	s_clause 0x1
	global_load_b128 v[60:63], v71, s[8:9] offset:624
	global_load_b128 v[70:73], v71, s[8:9] offset:640
	v_and_b32_e32 v121, 0xffff, v74
	s_clause 0x1
	global_load_b128 v[74:77], v78, s[8:9] offset:624
	global_load_b128 v[78:81], v78, s[8:9] offset:640
	v_lshlrev_b32_e32 v94, 5, v121
	s_clause 0x3
	global_load_b128 v[82:85], v86, s[8:9] offset:624
	global_load_b128 v[86:89], v86, s[8:9] offset:640
	;; [unrolled: 1-line block ×4, first 2 shown]
	s_waitcnt vmcnt(0) lgkmcnt(0)
	s_barrier
	buffer_gl0_inv
	v_mul_f64 v[98:99], v[46:47], v[62:63]
	v_mul_f64 v[101:102], v[54:55], v[72:73]
	;; [unrolled: 1-line block ×16, first 2 shown]
	v_fma_f64 v[44:45], v[44:45], v[60:61], v[98:99]
	v_fma_f64 v[52:53], v[52:53], v[70:71], v[101:102]
	v_fma_f64 v[46:47], v[46:47], v[60:61], -v[62:63]
	v_fma_f64 v[54:55], v[54:55], v[70:71], -v[72:73]
	v_fma_f64 v[28:29], v[28:29], v[74:75], v[103:104]
	v_fma_f64 v[36:37], v[36:37], v[78:79], v[105:106]
	v_fma_f64 v[30:31], v[30:31], v[74:75], -v[76:77]
	v_fma_f64 v[38:39], v[38:39], v[78:79], -v[80:81]
	v_fma_f64 v[48:49], v[48:49], v[82:83], v[107:108]
	v_fma_f64 v[56:57], v[56:57], v[86:87], v[109:110]
	v_fma_f64 v[50:51], v[50:51], v[82:83], -v[84:85]
	v_fma_f64 v[58:59], v[58:59], v[86:87], -v[88:89]
	v_fma_f64 v[32:33], v[32:33], v[90:91], v[111:112]
	v_fma_f64 v[40:41], v[40:41], v[94:95], v[113:114]
	v_fma_f64 v[34:35], v[34:35], v[90:91], -v[92:93]
	v_fma_f64 v[42:43], v[42:43], v[94:95], -v[96:97]
	v_add_f64 v[82:83], v[20:21], v[44:45]
	v_add_f64 v[60:61], v[44:45], v[52:53]
	v_add_f64 v[44:45], v[44:45], -v[52:53]
	v_add_f64 v[62:63], v[46:47], v[54:55]
	v_add_f64 v[84:85], v[46:47], -v[54:55]
	v_add_f64 v[70:71], v[28:29], v[36:37]
	v_add_f64 v[46:47], v[22:23], v[46:47]
	;; [unrolled: 1-line block ×7, first 2 shown]
	v_add_f64 v[98:99], v[30:31], -v[38:39]
	v_add_f64 v[78:79], v[32:33], v[40:41]
	v_add_f64 v[101:102], v[28:29], -v[36:37]
	v_add_f64 v[80:81], v[34:35], v[42:43]
	v_add_f64 v[94:95], v[12:13], v[32:33]
	;; [unrolled: 1-line block ×5, first 2 shown]
	v_add_f64 v[50:51], v[50:51], -v[58:59]
	v_add_f64 v[103:104], v[48:49], -v[56:57]
	;; [unrolled: 1-line block ×4, first 2 shown]
	v_fma_f64 v[60:61], v[60:61], -0.5, v[20:21]
	v_fma_f64 v[62:63], v[62:63], -0.5, v[22:23]
	;; [unrolled: 1-line block ×4, first 2 shown]
	v_add_f64 v[16:17], v[86:87], v[36:37]
	v_fma_f64 v[74:75], v[74:75], -0.5, v[24:25]
	v_add_f64 v[18:19], v[88:89], v[38:39]
	v_fma_f64 v[76:77], v[76:77], -0.5, v[26:27]
	v_fma_f64 v[78:79], v[78:79], -0.5, v[12:13]
	v_add_f64 v[12:13], v[82:83], v[52:53]
	v_fma_f64 v[80:81], v[80:81], -0.5, v[14:15]
	v_add_f64 v[14:15], v[46:47], v[54:55]
	v_add_f64 v[24:25], v[94:95], v[40:41]
	;; [unrolled: 1-line block ×5, first 2 shown]
	v_fma_f64 v[28:29], v[84:85], s[4:5], v[60:61]
	v_fma_f64 v[32:33], v[84:85], s[10:11], v[60:61]
	;; [unrolled: 1-line block ×16, first 2 shown]
	v_and_b32_e32 v60, 0xffff, v115
	v_mul_u32_u24_e32 v61, 0x9c0, v116
	v_lshlrev_b32_e32 v70, 4, v119
	v_mul_u32_u24_e32 v62, 0x9c0, v117
	v_mul_u32_u24_e32 v63, 0x9c0, v118
	;; [unrolled: 1-line block ×3, first 2 shown]
	v_lshlrev_b32_e32 v71, 4, v120
	v_lshlrev_b32_e32 v72, 4, v121
	v_add3_u32 v61, 0, v61, v70
	s_delay_alu instid0(VALU_DEP_4) | instskip(NEXT) | instid1(VALU_DEP_4)
	v_add3_u32 v60, 0, v60, v67
	v_add3_u32 v62, 0, v62, v71
	s_delay_alu instid0(VALU_DEP_4)
	v_add3_u32 v63, 0, v63, v72
	ds_store_b128 v60, v[12:15]
	ds_store_b128 v60, v[28:31] offset:832
	ds_store_b128 v60, v[32:35] offset:1664
	ds_store_b128 v61, v[16:19]
	ds_store_b128 v61, v[36:39] offset:832
	ds_store_b128 v61, v[40:43] offset:1664
	;; [unrolled: 3-line block ×4, first 2 shown]
	s_and_saveexec_b32 s1, s0
	s_cbranch_execz .LBB0_29
; %bb.28:
	v_add_nc_u32_e32 v12, 0x270, v66
	s_delay_alu instid0(VALU_DEP_1) | instskip(NEXT) | instid1(VALU_DEP_1)
	v_and_b32_e32 v13, 0xffff, v12
	v_mul_u32_u24_e32 v13, 0x4ec5, v13
	s_delay_alu instid0(VALU_DEP_1) | instskip(NEXT) | instid1(VALU_DEP_1)
	v_lshrrev_b32_e32 v13, 20, v13
	v_mul_lo_u16 v13, v13, 52
	s_delay_alu instid0(VALU_DEP_1) | instskip(NEXT) | instid1(VALU_DEP_1)
	v_sub_nc_u16 v12, v12, v13
	v_and_b32_e32 v24, 0xffff, v12
	s_delay_alu instid0(VALU_DEP_1)
	v_lshlrev_b32_e32 v16, 5, v24
	s_clause 0x1
	global_load_b128 v[12:15], v16, s[8:9] offset:624
	global_load_b128 v[16:19], v16, s[8:9] offset:640
	s_waitcnt vmcnt(1)
	v_mul_f64 v[20:21], v[8:9], v[14:15]
	s_waitcnt vmcnt(0)
	v_mul_f64 v[22:23], v[4:5], v[18:19]
	v_mul_f64 v[14:15], v[10:11], v[14:15]
	;; [unrolled: 1-line block ×3, first 2 shown]
	s_delay_alu instid0(VALU_DEP_4) | instskip(NEXT) | instid1(VALU_DEP_4)
	v_fma_f64 v[10:11], v[10:11], v[12:13], -v[20:21]
	v_fma_f64 v[6:7], v[6:7], v[16:17], -v[22:23]
	s_delay_alu instid0(VALU_DEP_4) | instskip(NEXT) | instid1(VALU_DEP_4)
	v_fma_f64 v[8:9], v[8:9], v[12:13], v[14:15]
	v_fma_f64 v[4:5], v[4:5], v[16:17], v[18:19]
	s_delay_alu instid0(VALU_DEP_4) | instskip(NEXT) | instid1(VALU_DEP_4)
	v_add_f64 v[18:19], v[2:3], v[10:11]
	v_add_f64 v[12:13], v[10:11], v[6:7]
	v_add_f64 v[20:21], v[10:11], -v[6:7]
	s_delay_alu instid0(VALU_DEP_4)
	v_add_f64 v[14:15], v[8:9], v[4:5]
	v_add_f64 v[16:17], v[8:9], -v[4:5]
	v_add_f64 v[8:9], v[0:1], v[8:9]
	v_fma_f64 v[12:13], v[12:13], -0.5, v[2:3]
	v_add_f64 v[2:3], v[18:19], v[6:7]
	v_fma_f64 v[14:15], v[14:15], -0.5, v[0:1]
	s_delay_alu instid0(VALU_DEP_4) | instskip(NEXT) | instid1(VALU_DEP_4)
	v_add_f64 v[0:1], v[8:9], v[4:5]
	v_fma_f64 v[10:11], v[16:17], s[10:11], v[12:13]
	v_fma_f64 v[6:7], v[16:17], s[4:5], v[12:13]
	s_delay_alu instid0(VALU_DEP_4)
	v_fma_f64 v[8:9], v[20:21], s[4:5], v[14:15]
	v_fma_f64 v[4:5], v[20:21], s[10:11], v[14:15]
	v_lshl_add_u32 v12, v24, 4, 0
	ds_store_b128 v12, v[0:3] offset:29952
	ds_store_b128 v12, v[8:11] offset:30784
	;; [unrolled: 1-line block ×3, first 2 shown]
.LBB0_29:
	s_or_b32 exec_lo, exec_lo, s1
	v_mul_u32_u24_e32 v0, 12, v66
	s_waitcnt lgkmcnt(0)
	s_barrier
	buffer_gl0_inv
	s_mov_b32 s40, 0x4267c47c
	v_lshlrev_b32_e32 v36, 4, v0
	s_mov_b32 s24, 0x42a4c3d2
	s_mov_b32 s38, 0x66966769
	s_mov_b32 s18, 0x2ef20147
	s_mov_b32 s30, 0x24c2f84
	s_clause 0x4
	global_load_b128 v[0:3], v36, s[8:9] offset:2288
	global_load_b128 v[4:7], v36, s[8:9] offset:2304
	;; [unrolled: 1-line block ×5, first 2 shown]
	ds_load_b128 v[8:11], v100 offset:2496
	ds_load_b128 v[56:59], v100
	ds_load_b128 v[26:29], v100 offset:4992
	ds_load_b128 v[30:33], v100 offset:7488
	;; [unrolled: 1-line block ×3, first 2 shown]
	s_mov_b32 s20, 0x4bc48dbf
	s_mov_b32 s41, 0xbfddbe06
	;; [unrolled: 1-line block ×28, first 2 shown]
	s_waitcnt vmcnt(4) lgkmcnt(4)
	v_mul_f64 v[16:17], v[10:11], v[2:3]
	v_mul_f64 v[2:3], v[8:9], v[2:3]
	s_delay_alu instid0(VALU_DEP_2) | instskip(NEXT) | instid1(VALU_DEP_2)
	v_fma_f64 v[53:54], v[8:9], v[0:1], v[16:17]
	v_fma_f64 v[70:71], v[10:11], v[0:1], -v[2:3]
	s_waitcnt vmcnt(3) lgkmcnt(2)
	v_mul_f64 v[0:1], v[26:27], v[6:7]
	v_mul_f64 v[2:3], v[28:29], v[6:7]
	s_waitcnt vmcnt(1) lgkmcnt(1)
	v_mul_f64 v[6:7], v[32:33], v[20:21]
	s_delay_alu instid0(VALU_DEP_3) | instskip(NEXT) | instid1(VALU_DEP_3)
	v_fma_f64 v[8:9], v[28:29], v[4:5], -v[0:1]
	v_fma_f64 v[10:11], v[26:27], v[4:5], v[2:3]
	s_waitcnt lgkmcnt(0)
	v_mul_f64 v[0:1], v[37:38], v[14:15]
	v_mul_f64 v[2:3], v[39:40], v[14:15]
	v_mul_f64 v[4:5], v[30:31], v[20:21]
	global_load_b128 v[26:29], v36, s[8:9] offset:2336
	v_fma_f64 v[0:1], v[39:40], v[12:13], -v[0:1]
	v_fma_f64 v[2:3], v[37:38], v[12:13], v[2:3]
	ds_load_b128 v[12:15], v100 offset:27456
	v_fma_f64 v[16:17], v[32:33], v[18:19], -v[4:5]
	v_fma_f64 v[18:19], v[30:31], v[18:19], v[6:7]
	ds_load_b128 v[30:33], v100 offset:24960
	s_waitcnt vmcnt(1) lgkmcnt(1)
	v_mul_f64 v[4:5], v[12:13], v[24:25]
	v_mul_f64 v[6:7], v[14:15], v[24:25]
	v_add_f64 v[72:73], v[53:54], v[2:3]
	s_delay_alu instid0(VALU_DEP_3) | instskip(NEXT) | instid1(VALU_DEP_3)
	v_fma_f64 v[4:5], v[14:15], v[22:23], -v[4:5]
	v_fma_f64 v[6:7], v[12:13], v[22:23], v[6:7]
	s_clause 0x1
	global_load_b128 v[20:23], v36, s[8:9] offset:2432
	global_load_b128 v[37:40], v36, s[8:9] offset:2416
	s_waitcnt vmcnt(1) lgkmcnt(0)
	v_mul_f64 v[12:13], v[30:31], v[22:23]
	v_mul_f64 v[14:15], v[32:33], v[22:23]
	s_delay_alu instid0(VALU_DEP_2) | instskip(NEXT) | instid1(VALU_DEP_2)
	v_fma_f64 v[12:13], v[32:33], v[20:21], -v[12:13]
	v_fma_f64 v[14:15], v[30:31], v[20:21], v[14:15]
	ds_load_b128 v[20:23], v100 offset:9984
	ds_load_b128 v[30:33], v100 offset:12480
	;; [unrolled: 1-line block ×4, first 2 shown]
	s_waitcnt lgkmcnt(3)
	v_mul_f64 v[24:25], v[22:23], v[28:29]
	s_delay_alu instid0(VALU_DEP_1) | instskip(SKIP_1) | instid1(VALU_DEP_1)
	v_fma_f64 v[24:25], v[20:21], v[26:27], v[24:25]
	v_mul_f64 v[20:21], v[20:21], v[28:29]
	v_fma_f64 v[26:27], v[22:23], v[26:27], -v[20:21]
	s_waitcnt vmcnt(0) lgkmcnt(1)
	v_mul_f64 v[20:21], v[43:44], v[39:40]
	v_mul_f64 v[22:23], v[41:42], v[39:40]
	s_delay_alu instid0(VALU_DEP_2) | instskip(NEXT) | instid1(VALU_DEP_2)
	v_fma_f64 v[20:21], v[41:42], v[37:38], v[20:21]
	v_fma_f64 v[22:23], v[43:44], v[37:38], -v[22:23]
	s_clause 0x1
	global_load_b128 v[37:40], v36, s[8:9] offset:2352
	global_load_b128 v[41:44], v36, s[8:9] offset:2368
	v_add_f64 v[141:142], v[24:25], v[20:21]
	v_add_f64 v[139:140], v[26:27], -v[22:23]
	v_add_f64 v[145:146], v[26:27], v[22:23]
	v_add_f64 v[147:148], v[24:25], -v[20:21]
	s_delay_alu instid0(VALU_DEP_3) | instskip(SKIP_1) | instid1(VALU_DEP_4)
	v_mul_f64 v[143:144], v[139:140], s[18:19]
	v_mul_f64 v[179:180], v[139:140], s[22:23]
	;; [unrolled: 1-line block ×5, first 2 shown]
	s_waitcnt vmcnt(1)
	v_mul_f64 v[28:29], v[32:33], v[39:40]
	s_delay_alu instid0(VALU_DEP_1) | instskip(SKIP_1) | instid1(VALU_DEP_1)
	v_fma_f64 v[28:29], v[30:31], v[37:38], v[28:29]
	v_mul_f64 v[30:31], v[30:31], v[39:40]
	v_fma_f64 v[30:31], v[32:33], v[37:38], -v[30:31]
	ds_load_b128 v[37:40], v100 offset:14976
	ds_load_b128 v[49:52], v100 offset:17472
	s_waitcnt vmcnt(0) lgkmcnt(1)
	v_mul_f64 v[32:33], v[39:40], v[43:44]
	v_mul_f64 v[34:35], v[37:38], v[43:44]
	s_delay_alu instid0(VALU_DEP_2) | instskip(NEXT) | instid1(VALU_DEP_2)
	v_fma_f64 v[32:33], v[37:38], v[41:42], v[32:33]
	v_fma_f64 v[34:35], v[39:40], v[41:42], -v[34:35]
	s_clause 0x1
	global_load_b128 v[38:41], v36, s[8:9] offset:2384
	global_load_b128 v[60:63], v36, s[8:9] offset:2400
	s_mov_b32 s8, 0xb2365da1
	s_mov_b32 s9, 0xbfd6b1d8
	s_waitcnt vmcnt(0) lgkmcnt(0)
	v_mul_f64 v[149:150], v[145:146], s[8:9]
	s_barrier
	buffer_gl0_inv
	v_mul_f64 v[36:37], v[51:52], v[40:41]
	v_mul_f64 v[40:41], v[49:50], v[40:41]
	;; [unrolled: 1-line block ×3, first 2 shown]
	s_delay_alu instid0(VALU_DEP_3) | instskip(NEXT) | instid1(VALU_DEP_3)
	v_fma_f64 v[36:37], v[49:50], v[38:39], v[36:37]
	v_fma_f64 v[38:39], v[51:52], v[38:39], -v[40:41]
	v_mul_f64 v[40:41], v[47:48], v[62:63]
	s_delay_alu instid0(VALU_DEP_4) | instskip(NEXT) | instid1(VALU_DEP_4)
	v_fma_f64 v[42:43], v[47:48], v[60:61], -v[42:43]
	v_add_f64 v[165:166], v[32:33], v[36:37]
	s_delay_alu instid0(VALU_DEP_4) | instskip(NEXT) | instid1(VALU_DEP_4)
	v_add_f64 v[163:164], v[34:35], -v[38:39]
	v_fma_f64 v[40:41], v[45:46], v[60:61], v[40:41]
	v_add_f64 v[44:45], v[70:71], -v[0:1]
	v_add_f64 v[151:152], v[30:31], -v[42:43]
	v_add_f64 v[157:158], v[30:31], v[42:43]
	v_add_f64 v[169:170], v[34:35], v[38:39]
	v_add_f64 v[171:172], v[32:33], -v[36:37]
	v_mul_f64 v[167:168], v[163:164], s[20:21]
	v_add_f64 v[153:154], v[28:29], v[40:41]
	v_mul_f64 v[46:47], v[44:45], s[40:41]
	v_mul_f64 v[48:49], v[44:45], s[24:25]
	;; [unrolled: 1-line block ×7, first 2 shown]
	v_add_f64 v[159:160], v[28:29], -v[40:41]
	v_mul_f64 v[161:162], v[157:158], s[4:5]
	v_mul_f64 v[173:174], v[169:170], s[0:1]
	;; [unrolled: 1-line block ×12, first 2 shown]
	v_fma_f64 v[74:75], v[72:73], s[14:15], v[46:47]
	v_fma_f64 v[76:77], v[72:73], s[14:15], -v[46:47]
	v_fma_f64 v[78:79], v[72:73], s[10:11], v[48:49]
	v_fma_f64 v[80:81], v[72:73], s[10:11], -v[48:49]
	v_fma_f64 v[82:83], v[72:73], s[12:13], v[50:51]
	v_fma_f64 v[94:95], v[72:73], s[0:1], v[44:45]
	v_fma_f64 v[101:102], v[72:73], s[0:1], -v[44:45]
	v_add_f64 v[44:45], v[70:71], v[0:1]
	v_fma_f64 v[84:85], v[72:73], s[12:13], -v[50:51]
	v_fma_f64 v[86:87], v[72:73], s[8:9], v[60:61]
	v_fma_f64 v[88:89], v[72:73], s[8:9], -v[60:61]
	v_fma_f64 v[90:91], v[72:73], s[4:5], v[62:63]
	v_fma_f64 v[92:93], v[72:73], s[4:5], -v[62:63]
	v_add_f64 v[72:73], v[53:54], -v[2:3]
	v_add_f64 v[123:124], v[56:57], v[76:77]
	v_add_f64 v[127:128], v[56:57], v[78:79]
	;; [unrolled: 1-line block ×3, first 2 shown]
	v_mul_f64 v[46:47], v[44:45], s[14:15]
	v_mul_f64 v[48:49], v[44:45], s[10:11]
	;; [unrolled: 1-line block ×6, first 2 shown]
	v_add_f64 v[76:77], v[56:57], v[92:93]
	v_add_f64 v[92:93], v[56:57], v[94:95]
	v_add_f64 v[94:95], v[8:9], -v[4:5]
	v_add_f64 v[135:136], v[56:57], v[86:87]
	v_fma_f64 v[96:97], v[72:73], s[36:37], v[46:47]
	v_fma_f64 v[98:99], v[72:73], s[40:41], v[46:47]
	;; [unrolled: 1-line block ×12, first 2 shown]
	v_add_f64 v[44:45], v[56:57], v[53:54]
	v_add_f64 v[46:47], v[58:59], v[70:71]
	;; [unrolled: 1-line block ×7, first 2 shown]
	v_mul_f64 v[175:176], v[94:95], s[18:19]
	v_mul_f64 v[191:192], v[94:95], s[20:21]
	;; [unrolled: 1-line block ×3, first 2 shown]
	v_add_f64 v[50:51], v[58:59], v[96:97]
	v_add_f64 v[125:126], v[58:59], v[98:99]
	;; [unrolled: 1-line block ×14, first 2 shown]
	v_mul_f64 v[58:59], v[94:95], s[24:25]
	v_add_f64 v[117:118], v[8:9], v[4:5]
	v_add_f64 v[119:120], v[16:17], -v[12:13]
	v_add_f64 v[121:122], v[16:17], v[12:13]
	v_add_f64 v[8:9], v[46:47], v[8:9]
	v_fma_f64 v[82:83], v[56:57], s[10:11], -v[58:59]
	v_mul_f64 v[84:85], v[117:118], s[10:11]
	v_mul_f64 v[88:89], v[119:120], s[38:39]
	;; [unrolled: 1-line block ×4, first 2 shown]
	v_add_f64 v[8:9], v[8:9], v[16:17]
	v_add_f64 v[101:102], v[82:83], v[123:124]
	v_add_f64 v[82:83], v[10:11], -v[6:7]
	v_add_f64 v[123:124], v[18:19], -v[14:15]
	v_add_f64 v[10:11], v[44:45], v[10:11]
	v_add_f64 v[8:9], v[8:9], v[26:27]
	s_delay_alu instid0(VALU_DEP_4) | instskip(NEXT) | instid1(VALU_DEP_3)
	v_fma_f64 v[86:87], v[82:83], s[24:25], v[84:85]
	v_add_f64 v[10:11], v[10:11], v[18:19]
	s_delay_alu instid0(VALU_DEP_3) | instskip(NEXT) | instid1(VALU_DEP_3)
	v_add_f64 v[8:9], v[8:9], v[30:31]
	v_add_f64 v[103:104], v[86:87], v[125:126]
	v_add_f64 v[86:87], v[18:19], v[14:15]
	v_mul_f64 v[125:126], v[121:122], s[12:13]
	v_add_f64 v[10:11], v[10:11], v[24:25]
	v_add_f64 v[8:9], v[8:9], v[34:35]
	s_delay_alu instid0(VALU_DEP_4) | instskip(NEXT) | instid1(VALU_DEP_3)
	v_fma_f64 v[105:106], v[86:87], s[12:13], -v[88:89]
	v_add_f64 v[10:11], v[10:11], v[28:29]
	s_delay_alu instid0(VALU_DEP_3) | instskip(NEXT) | instid1(VALU_DEP_3)
	v_add_f64 v[8:9], v[8:9], v[38:39]
	v_add_f64 v[101:102], v[105:106], v[101:102]
	v_fma_f64 v[105:106], v[123:124], s[38:39], v[125:126]
	s_delay_alu instid0(VALU_DEP_4) | instskip(NEXT) | instid1(VALU_DEP_4)
	v_add_f64 v[10:11], v[10:11], v[32:33]
	v_add_f64 v[8:9], v[8:9], v[42:43]
	s_delay_alu instid0(VALU_DEP_3) | instskip(SKIP_1) | instid1(VALU_DEP_4)
	v_add_f64 v[103:104], v[105:106], v[103:104]
	v_fma_f64 v[105:106], v[141:142], s[8:9], -v[143:144]
	v_add_f64 v[10:11], v[10:11], v[36:37]
	s_delay_alu instid0(VALU_DEP_4) | instskip(NEXT) | instid1(VALU_DEP_3)
	v_add_f64 v[8:9], v[8:9], v[22:23]
	v_add_f64 v[101:102], v[105:106], v[101:102]
	v_fma_f64 v[105:106], v[147:148], s[18:19], v[149:150]
	s_delay_alu instid0(VALU_DEP_4) | instskip(NEXT) | instid1(VALU_DEP_4)
	v_add_f64 v[10:11], v[10:11], v[40:41]
	v_add_f64 v[8:9], v[8:9], v[12:13]
	s_delay_alu instid0(VALU_DEP_3) | instskip(SKIP_1) | instid1(VALU_DEP_4)
	v_add_f64 v[103:104], v[105:106], v[103:104]
	v_fma_f64 v[105:106], v[153:154], s[4:5], -v[155:156]
	v_add_f64 v[10:11], v[10:11], v[20:21]
	s_delay_alu instid0(VALU_DEP_4) | instskip(NEXT) | instid1(VALU_DEP_3)
	v_add_f64 v[4:5], v[8:9], v[4:5]
	v_add_f64 v[101:102], v[105:106], v[101:102]
	v_fma_f64 v[105:106], v[159:160], s[30:31], v[161:162]
	s_delay_alu instid0(VALU_DEP_4) | instskip(NEXT) | instid1(VALU_DEP_4)
	v_add_f64 v[10:11], v[10:11], v[14:15]
	v_add_f64 v[4:5], v[4:5], v[0:1]
	s_delay_alu instid0(VALU_DEP_3) | instskip(SKIP_1) | instid1(VALU_DEP_4)
	v_add_f64 v[103:104], v[105:106], v[103:104]
	v_fma_f64 v[105:106], v[165:166], s[0:1], -v[167:168]
	v_add_f64 v[6:7], v[10:11], v[6:7]
	s_delay_alu instid0(VALU_DEP_2) | instskip(SKIP_1) | instid1(VALU_DEP_3)
	v_add_f64 v[101:102], v[105:106], v[101:102]
	v_fma_f64 v[105:106], v[171:172], s[20:21], v[173:174]
	v_add_f64 v[2:3], v[6:7], v[2:3]
	s_delay_alu instid0(VALU_DEP_2) | instskip(SKIP_1) | instid1(VALU_DEP_1)
	v_add_f64 v[103:104], v[105:106], v[103:104]
	v_fma_f64 v[105:106], v[56:57], s[8:9], v[175:176]
	v_add_f64 v[105:106], v[105:106], v[127:128]
	v_mul_f64 v[127:128], v[117:118], s[8:9]
	s_delay_alu instid0(VALU_DEP_1) | instskip(NEXT) | instid1(VALU_DEP_1)
	v_fma_f64 v[107:108], v[82:83], s[26:27], v[127:128]
	v_add_f64 v[107:108], v[107:108], v[129:130]
	v_mul_f64 v[129:130], v[119:120], s[20:21]
	s_delay_alu instid0(VALU_DEP_1) | instskip(NEXT) | instid1(VALU_DEP_1)
	v_fma_f64 v[109:110], v[86:87], s[0:1], v[129:130]
	v_add_f64 v[105:106], v[109:110], v[105:106]
	v_fma_f64 v[109:110], v[123:124], s[16:17], v[177:178]
	s_delay_alu instid0(VALU_DEP_1) | instskip(SKIP_1) | instid1(VALU_DEP_1)
	v_add_f64 v[107:108], v[109:110], v[107:108]
	v_fma_f64 v[109:110], v[141:142], s[4:5], v[179:180]
	v_add_f64 v[105:106], v[109:110], v[105:106]
	v_fma_f64 v[109:110], v[147:148], s[30:31], v[181:182]
	s_delay_alu instid0(VALU_DEP_1) | instskip(SKIP_1) | instid1(VALU_DEP_1)
	v_add_f64 v[107:108], v[109:110], v[107:108]
	;; [unrolled: 5-line block ×4, first 2 shown]
	v_fma_f64 v[109:110], v[56:57], s[0:1], v[191:192]
	v_add_f64 v[109:110], v[109:110], v[131:132]
	v_mul_f64 v[131:132], v[117:118], s[0:1]
	s_delay_alu instid0(VALU_DEP_1) | instskip(NEXT) | instid1(VALU_DEP_1)
	v_fma_f64 v[111:112], v[82:83], s[16:17], v[131:132]
	v_add_f64 v[111:112], v[111:112], v[133:134]
	v_mul_f64 v[133:134], v[119:120], s[26:27]
	s_delay_alu instid0(VALU_DEP_1) | instskip(NEXT) | instid1(VALU_DEP_1)
	v_fma_f64 v[113:114], v[86:87], s[8:9], v[133:134]
	v_add_f64 v[109:110], v[113:114], v[109:110]
	v_fma_f64 v[113:114], v[123:124], s[18:19], v[193:194]
	s_delay_alu instid0(VALU_DEP_1) | instskip(SKIP_1) | instid1(VALU_DEP_1)
	v_add_f64 v[111:112], v[113:114], v[111:112]
	v_fma_f64 v[113:114], v[141:142], s[14:15], v[195:196]
	v_add_f64 v[109:110], v[113:114], v[109:110]
	v_fma_f64 v[113:114], v[147:148], s[40:41], v[197:198]
	s_delay_alu instid0(VALU_DEP_1) | instskip(SKIP_1) | instid1(VALU_DEP_1)
	v_add_f64 v[111:112], v[113:114], v[111:112]
	;; [unrolled: 5-line block ×4, first 2 shown]
	v_fma_f64 v[113:114], v[56:57], s[4:5], v[207:208]
	v_add_f64 v[113:114], v[113:114], v[135:136]
	v_mul_f64 v[135:136], v[117:118], s[4:5]
	s_delay_alu instid0(VALU_DEP_1) | instskip(NEXT) | instid1(VALU_DEP_1)
	v_fma_f64 v[115:116], v[82:83], s[30:31], v[135:136]
	v_add_f64 v[115:116], v[115:116], v[137:138]
	v_mul_f64 v[137:138], v[119:120], s[36:37]
	s_delay_alu instid0(VALU_DEP_1) | instskip(NEXT) | instid1(VALU_DEP_1)
	;; [unrolled: 4-line block ×7, first 2 shown]
	v_fma_f64 v[219:220], v[159:160], s[20:21], v[217:218]
	v_add_f64 v[115:116], v[219:220], v[115:116]
	v_mul_f64 v[219:220], v[163:164], s[34:35]
	v_mul_f64 v[163:164], v[163:164], s[28:29]
	s_delay_alu instid0(VALU_DEP_2) | instskip(NEXT) | instid1(VALU_DEP_1)
	v_fma_f64 v[221:222], v[165:166], s[10:11], v[219:220]
	v_add_f64 v[113:114], v[221:222], v[113:114]
	v_mul_f64 v[221:222], v[169:170], s[10:11]
	v_mul_f64 v[169:170], v[169:170], s[12:13]
	s_delay_alu instid0(VALU_DEP_2) | instskip(NEXT) | instid1(VALU_DEP_1)
	;; [unrolled: 5-line block ×10, first 2 shown]
	v_fma_f64 v[239:240], v[159:160], s[40:41], v[237:238]
	v_add_f64 v[239:240], v[239:240], v[96:97]
	v_fma_f64 v[96:97], v[165:166], s[8:9], v[241:242]
	s_delay_alu instid0(VALU_DEP_1) | instskip(SKIP_1) | instid1(VALU_DEP_1)
	v_add_f64 v[96:97], v[96:97], v[98:99]
	v_fma_f64 v[98:99], v[171:172], s[26:27], v[243:244]
	v_add_f64 v[98:99], v[98:99], v[239:240]
	v_fma_f64 v[239:240], v[56:57], s[14:15], v[94:95]
	v_fma_f64 v[94:95], v[56:57], s[14:15], -v[94:95]
	s_delay_alu instid0(VALU_DEP_2) | instskip(NEXT) | instid1(VALU_DEP_2)
	v_add_f64 v[92:93], v[239:240], v[92:93]
	v_add_f64 v[80:81], v[94:95], v[80:81]
	v_fma_f64 v[94:95], v[82:83], s[36:37], v[117:118]
	v_fma_f64 v[239:240], v[82:83], s[40:41], v[117:118]
	;; [unrolled: 1-line block ×3, first 2 shown]
	s_delay_alu instid0(VALU_DEP_3) | instskip(SKIP_1) | instid1(VALU_DEP_4)
	v_add_f64 v[78:79], v[94:95], v[78:79]
	v_fma_f64 v[94:95], v[86:87], s[4:5], -v[119:120]
	v_add_f64 v[90:91], v[239:240], v[90:91]
	v_fma_f64 v[239:240], v[86:87], s[4:5], v[119:120]
	s_delay_alu instid0(VALU_DEP_3) | instskip(SKIP_1) | instid1(VALU_DEP_3)
	v_add_f64 v[80:81], v[94:95], v[80:81]
	v_fma_f64 v[94:95], v[123:124], s[30:31], v[121:122]
	v_add_f64 v[92:93], v[239:240], v[92:93]
	v_fma_f64 v[239:240], v[123:124], s[22:23], v[121:122]
	s_delay_alu instid0(VALU_DEP_3) | instskip(SKIP_1) | instid1(VALU_DEP_3)
	v_add_f64 v[78:79], v[94:95], v[78:79]
	v_fma_f64 v[94:95], v[141:142], s[10:11], -v[139:140]
	v_add_f64 v[90:91], v[239:240], v[90:91]
	v_fma_f64 v[239:240], v[141:142], s[10:11], v[139:140]
	s_delay_alu instid0(VALU_DEP_3) | instskip(SKIP_1) | instid1(VALU_DEP_3)
	v_add_f64 v[80:81], v[94:95], v[80:81]
	v_fma_f64 v[94:95], v[147:148], s[34:35], v[145:146]
	v_add_f64 v[92:93], v[239:240], v[92:93]
	v_fma_f64 v[239:240], v[147:148], s[24:25], v[145:146]
	s_delay_alu instid0(VALU_DEP_3) | instskip(SKIP_1) | instid1(VALU_DEP_3)
	;; [unrolled: 10-line block ×3, first 2 shown]
	v_add_f64 v[94:95], v[94:95], v[78:79]
	v_fma_f64 v[78:79], v[165:166], s[12:13], -v[163:164]
	v_add_f64 v[239:240], v[239:240], v[90:91]
	v_fma_f64 v[90:91], v[165:166], s[12:13], v[163:164]
	s_delay_alu instid0(VALU_DEP_3)
	v_add_f64 v[78:79], v[78:79], v[80:81]
	v_add_f64 v[80:81], v[117:118], v[94:95]
	v_fma_f64 v[94:95], v[56:57], s[12:13], -v[223:224]
	v_fma_f64 v[117:118], v[171:172], s[18:19], v[243:244]
	v_add_f64 v[90:91], v[90:91], v[92:93]
	v_fma_f64 v[92:93], v[171:172], s[38:39], v[169:170]
	s_delay_alu instid0(VALU_DEP_4) | instskip(SKIP_1) | instid1(VALU_DEP_3)
	v_add_f64 v[76:77], v[94:95], v[76:77]
	v_fma_f64 v[94:95], v[82:83], s[28:29], v[225:226]
	v_add_f64 v[92:93], v[92:93], v[239:240]
	s_delay_alu instid0(VALU_DEP_2) | instskip(SKIP_1) | instid1(VALU_DEP_1)
	v_add_f64 v[74:75], v[94:95], v[74:75]
	v_fma_f64 v[94:95], v[86:87], s[10:11], -v[227:228]
	v_add_f64 v[76:77], v[94:95], v[76:77]
	v_fma_f64 v[94:95], v[123:124], s[24:25], v[229:230]
	s_delay_alu instid0(VALU_DEP_1) | instskip(SKIP_1) | instid1(VALU_DEP_1)
	v_add_f64 v[74:75], v[94:95], v[74:75]
	v_fma_f64 v[94:95], v[141:142], s[0:1], -v[231:232]
	v_add_f64 v[76:77], v[94:95], v[76:77]
	v_fma_f64 v[94:95], v[147:148], s[16:17], v[233:234]
	s_delay_alu instid0(VALU_DEP_1) | instskip(SKIP_1) | instid1(VALU_DEP_1)
	;; [unrolled: 5-line block ×3, first 2 shown]
	v_add_f64 v[94:95], v[94:95], v[74:75]
	v_fma_f64 v[74:75], v[165:166], s[8:9], -v[241:242]
	v_add_f64 v[74:75], v[74:75], v[76:77]
	s_delay_alu instid0(VALU_DEP_3) | instskip(SKIP_2) | instid1(VALU_DEP_2)
	v_add_f64 v[76:77], v[117:118], v[94:95]
	v_fma_f64 v[94:95], v[56:57], s[4:5], -v[207:208]
	v_fma_f64 v[117:118], v[171:172], s[34:35], v[221:222]
	v_add_f64 v[72:73], v[94:95], v[72:73]
	v_fma_f64 v[94:95], v[82:83], s[22:23], v[135:136]
	s_delay_alu instid0(VALU_DEP_1) | instskip(SKIP_1) | instid1(VALU_DEP_1)
	v_add_f64 v[70:71], v[94:95], v[70:71]
	v_fma_f64 v[94:95], v[86:87], s[14:15], -v[137:138]
	v_add_f64 v[72:73], v[94:95], v[72:73]
	v_fma_f64 v[94:95], v[123:124], s[36:37], v[209:210]
	s_delay_alu instid0(VALU_DEP_1) | instskip(SKIP_1) | instid1(VALU_DEP_1)
	v_add_f64 v[70:71], v[94:95], v[70:71]
	v_fma_f64 v[94:95], v[141:142], s[12:13], -v[211:212]
	v_add_f64 v[72:73], v[94:95], v[72:73]
	v_fma_f64 v[94:95], v[147:148], s[38:39], v[213:214]
	s_delay_alu instid0(VALU_DEP_1) | instskip(SKIP_1) | instid1(VALU_DEP_1)
	v_add_f64 v[70:71], v[94:95], v[70:71]
	v_fma_f64 v[94:95], v[153:154], s[0:1], -v[215:216]
	v_add_f64 v[72:73], v[94:95], v[72:73]
	v_fma_f64 v[94:95], v[159:160], s[16:17], v[217:218]
	s_delay_alu instid0(VALU_DEP_1) | instskip(SKIP_1) | instid1(VALU_DEP_1)
	v_add_f64 v[94:95], v[94:95], v[70:71]
	v_fma_f64 v[70:71], v[165:166], s[10:11], -v[219:220]
	v_add_f64 v[70:71], v[70:71], v[72:73]
	s_delay_alu instid0(VALU_DEP_3) | instskip(SKIP_2) | instid1(VALU_DEP_2)
	v_add_f64 v[72:73], v[117:118], v[94:95]
	v_fma_f64 v[94:95], v[56:57], s[0:1], -v[191:192]
	v_fma_f64 v[117:118], v[171:172], s[30:31], v[205:206]
	v_add_f64 v[62:63], v[94:95], v[62:63]
	v_fma_f64 v[94:95], v[82:83], s[20:21], v[131:132]
	s_delay_alu instid0(VALU_DEP_1) | instskip(SKIP_1) | instid1(VALU_DEP_1)
	v_add_f64 v[60:61], v[94:95], v[60:61]
	v_fma_f64 v[94:95], v[86:87], s[8:9], -v[133:134]
	v_add_f64 v[62:63], v[94:95], v[62:63]
	v_fma_f64 v[94:95], v[123:124], s[26:27], v[193:194]
	s_delay_alu instid0(VALU_DEP_1) | instskip(SKIP_1) | instid1(VALU_DEP_1)
	v_add_f64 v[60:61], v[94:95], v[60:61]
	v_fma_f64 v[94:95], v[141:142], s[14:15], -v[195:196]
	;; [unrolled: 5-line block ×4, first 2 shown]
	v_add_f64 v[60:61], v[60:61], v[62:63]
	s_delay_alu instid0(VALU_DEP_3)
	v_add_f64 v[62:63], v[117:118], v[94:95]
	v_fma_f64 v[94:95], v[56:57], s[8:9], -v[175:176]
	v_fma_f64 v[56:57], v[56:57], s[10:11], v[58:59]
	v_fma_f64 v[58:59], v[82:83], s[34:35], v[84:85]
	;; [unrolled: 1-line block ×4, first 2 shown]
	v_add_f64 v[54:55], v[94:95], v[54:55]
	v_fma_f64 v[94:95], v[82:83], s[18:19], v[127:128]
	v_fma_f64 v[82:83], v[86:87], s[12:13], v[88:89]
	v_add_f64 v[48:49], v[56:57], v[48:49]
	v_add_f64 v[50:51], v[58:59], v[50:51]
	v_fma_f64 v[56:57], v[141:142], s[8:9], v[143:144]
	v_fma_f64 v[58:59], v[147:148], s[26:27], v[149:150]
	v_add_f64 v[52:53], v[94:95], v[52:53]
	v_fma_f64 v[94:95], v[86:87], s[0:1], -v[129:130]
	v_add_f64 v[48:49], v[82:83], v[48:49]
	v_add_f64 v[50:51], v[84:85], v[50:51]
	v_fma_f64 v[82:83], v[153:154], s[4:5], v[155:156]
	v_fma_f64 v[84:85], v[159:160], s[22:23], v[161:162]
	v_add_f64 v[54:55], v[94:95], v[54:55]
	v_fma_f64 v[94:95], v[123:124], s[20:21], v[177:178]
	v_add_f64 v[48:49], v[56:57], v[48:49]
	v_add_f64 v[50:51], v[58:59], v[50:51]
	v_fma_f64 v[56:57], v[165:166], s[0:1], v[167:168]
	v_fma_f64 v[58:59], v[171:172], s[16:17], v[173:174]
	v_add_f64 v[52:53], v[94:95], v[52:53]
	v_fma_f64 v[94:95], v[141:142], s[4:5], -v[179:180]
	v_add_f64 v[48:49], v[82:83], v[48:49]
	v_add_f64 v[50:51], v[84:85], v[50:51]
	s_delay_alu instid0(VALU_DEP_3) | instskip(SKIP_1) | instid1(VALU_DEP_4)
	v_add_f64 v[54:55], v[94:95], v[54:55]
	v_fma_f64 v[94:95], v[147:148], s[22:23], v[181:182]
	v_add_f64 v[48:49], v[56:57], v[48:49]
	s_delay_alu instid0(VALU_DEP_4) | instskip(NEXT) | instid1(VALU_DEP_3)
	v_add_f64 v[50:51], v[58:59], v[50:51]
	v_add_f64 v[52:53], v[94:95], v[52:53]
	v_fma_f64 v[94:95], v[153:154], s[12:13], -v[183:184]
	s_delay_alu instid0(VALU_DEP_1) | instskip(SKIP_1) | instid1(VALU_DEP_1)
	v_add_f64 v[54:55], v[94:95], v[54:55]
	v_fma_f64 v[94:95], v[159:160], s[28:29], v[185:186]
	v_add_f64 v[94:95], v[94:95], v[52:53]
	v_fma_f64 v[52:53], v[165:166], s[14:15], -v[187:188]
	s_delay_alu instid0(VALU_DEP_1) | instskip(NEXT) | instid1(VALU_DEP_3)
	v_add_f64 v[52:53], v[52:53], v[54:55]
	v_add_f64 v[54:55], v[117:118], v[94:95]
	ds_store_b128 v100, v[105:108] offset:4992
	ds_store_b128 v100, v[109:112] offset:7488
	;; [unrolled: 1-line block ×12, first 2 shown]
	ds_store_b128 v100, v[2:5]
	s_waitcnt lgkmcnt(0)
	s_barrier
	buffer_gl0_inv
	s_and_saveexec_b32 s0, vcc_lo
	s_cbranch_execz .LBB0_31
; %bb.30:
	v_mul_lo_u32 v2, s3, v68
	v_mul_lo_u32 v3, s2, v69
	v_mad_u64_u32 v[0:1], null, s2, v68, 0
	v_dual_mov_b32 v67, 0 :: v_dual_add_nc_u32 v10, 0x9c, v66
	v_lshlrev_b64 v[8:9], 4, v[64:65]
	v_lshl_add_u32 v28, v66, 4, 0
	s_delay_alu instid0(VALU_DEP_3) | instskip(SKIP_4) | instid1(VALU_DEP_4)
	v_dual_mov_b32 v11, v67 :: v_dual_add_nc_u32 v12, 0x138, v66
	v_add3_u32 v1, v1, v3, v2
	v_lshlrev_b64 v[14:15], 4, v[66:67]
	v_dual_mov_b32 v13, v67 :: v_dual_add_nc_u32 v22, 0x1d4, v66
	v_dual_mov_b32 v23, v67 :: v_dual_add_nc_u32 v24, 0x270, v66
	v_lshlrev_b64 v[16:17], 4, v[0:1]
	ds_load_b128 v[0:3], v28
	ds_load_b128 v[4:7], v28 offset:2496
	v_mov_b32_e32 v25, v67
	v_lshlrev_b64 v[22:23], 4, v[22:23]
	v_add_co_u32 v18, vcc_lo, s6, v16
	v_add_co_ci_u32_e32 v19, vcc_lo, s7, v17, vcc_lo
	v_lshlrev_b64 v[16:17], 4, v[10:11]
	s_delay_alu instid0(VALU_DEP_3) | instskip(NEXT) | instid1(VALU_DEP_3)
	v_add_co_u32 v30, vcc_lo, v18, v8
	v_add_co_ci_u32_e32 v31, vcc_lo, v19, v9, vcc_lo
	v_lshlrev_b64 v[18:19], 4, v[12:13]
	s_delay_alu instid0(VALU_DEP_3) | instskip(NEXT) | instid1(VALU_DEP_3)
	v_add_co_u32 v20, vcc_lo, v30, v14
	v_add_co_ci_u32_e32 v21, vcc_lo, v31, v15, vcc_lo
	ds_load_b128 v[8:11], v28 offset:4992
	ds_load_b128 v[12:15], v28 offset:7488
	v_add_co_u32 v16, vcc_lo, v30, v16
	v_add_co_ci_u32_e32 v17, vcc_lo, v31, v17, vcc_lo
	v_add_co_u32 v18, vcc_lo, v30, v18
	v_add_co_ci_u32_e32 v19, vcc_lo, v31, v19, vcc_lo
	;; [unrolled: 2-line block ×3, first 2 shown]
	s_waitcnt lgkmcnt(3)
	global_store_b128 v[20:21], v[0:3], off
	s_waitcnt lgkmcnt(2)
	global_store_b128 v[16:17], v[4:7], off
	;; [unrolled: 2-line block ×4, first 2 shown]
	v_add_nc_u32_e32 v8, 0x30c, v66
	v_lshlrev_b64 v[0:1], 4, v[24:25]
	v_dual_mov_b32 v9, v67 :: v_dual_add_nc_u32 v10, 0x3a8, v66
	v_dual_mov_b32 v11, v67 :: v_dual_add_nc_u32 v22, 0x444, v66
	;; [unrolled: 1-line block ×3, first 2 shown]
	s_delay_alu instid0(VALU_DEP_4)
	v_add_co_u32 v16, vcc_lo, v30, v0
	v_add_co_ci_u32_e32 v17, vcc_lo, v31, v1, vcc_lo
	ds_load_b128 v[0:3], v28 offset:9984
	ds_load_b128 v[4:7], v28 offset:12480
	v_lshlrev_b64 v[18:19], 4, v[8:9]
	v_lshlrev_b64 v[20:21], 4, v[10:11]
	ds_load_b128 v[8:11], v28 offset:14976
	ds_load_b128 v[12:15], v28 offset:17472
	v_lshlrev_b64 v[22:23], 4, v[22:23]
	v_add_co_u32 v18, vcc_lo, v30, v18
	v_add_co_ci_u32_e32 v19, vcc_lo, v31, v19, vcc_lo
	v_add_co_u32 v20, vcc_lo, v30, v20
	v_add_co_ci_u32_e32 v21, vcc_lo, v31, v21, vcc_lo
	v_add_co_u32 v22, vcc_lo, v30, v22
	s_waitcnt lgkmcnt(3)
	global_store_b128 v[16:17], v[0:3], off
	s_waitcnt lgkmcnt(2)
	global_store_b128 v[18:19], v[4:7], off
	v_dual_mov_b32 v3, v67 :: v_dual_add_nc_u32 v2, 0x57c, v66
	v_add_co_ci_u32_e32 v23, vcc_lo, v31, v23, vcc_lo
	v_lshlrev_b64 v[0:1], 4, v[24:25]
	s_waitcnt lgkmcnt(1)
	global_store_b128 v[20:21], v[8:11], off
	s_waitcnt lgkmcnt(0)
	global_store_b128 v[22:23], v[12:15], off
	v_lshlrev_b64 v[8:9], 4, v[2:3]
	v_dual_mov_b32 v11, v67 :: v_dual_add_nc_u32 v10, 0x618, v66
	v_add_co_u32 v20, vcc_lo, v30, v0
	v_add_co_ci_u32_e32 v21, vcc_lo, v31, v1, vcc_lo
	s_delay_alu instid0(VALU_DEP_4)
	v_add_co_u32 v22, vcc_lo, v30, v8
	ds_load_b128 v[0:3], v28 offset:19968
	ds_load_b128 v[4:7], v28 offset:22464
	v_add_co_ci_u32_e32 v23, vcc_lo, v31, v9, vcc_lo
	v_lshlrev_b64 v[26:27], 4, v[10:11]
	ds_load_b128 v[8:11], v28 offset:24960
	ds_load_b128 v[12:15], v28 offset:27456
	;; [unrolled: 1-line block ×3, first 2 shown]
	v_add_nc_u32_e32 v24, 0x6b4, v66
	v_add_nc_u32_e32 v66, 0x750, v66
	v_add_co_u32 v26, vcc_lo, v30, v26
	s_delay_alu instid0(VALU_DEP_3) | instskip(NEXT) | instid1(VALU_DEP_3)
	v_lshlrev_b64 v[24:25], 4, v[24:25]
	v_lshlrev_b64 v[28:29], 4, v[66:67]
	v_add_co_ci_u32_e32 v27, vcc_lo, v31, v27, vcc_lo
	s_delay_alu instid0(VALU_DEP_3) | instskip(NEXT) | instid1(VALU_DEP_4)
	v_add_co_u32 v24, vcc_lo, v30, v24
	v_add_co_ci_u32_e32 v25, vcc_lo, v31, v25, vcc_lo
	s_delay_alu instid0(VALU_DEP_4)
	v_add_co_u32 v28, vcc_lo, v30, v28
	v_add_co_ci_u32_e32 v29, vcc_lo, v31, v29, vcc_lo
	s_waitcnt lgkmcnt(4)
	global_store_b128 v[20:21], v[0:3], off
	s_waitcnt lgkmcnt(3)
	global_store_b128 v[22:23], v[4:7], off
	s_waitcnt lgkmcnt(2)
	global_store_b128 v[26:27], v[8:11], off
	s_waitcnt lgkmcnt(1)
	global_store_b128 v[24:25], v[12:15], off
	s_waitcnt lgkmcnt(0)
	global_store_b128 v[28:29], v[16:19], off
.LBB0_31:
	s_nop 0
	s_sendmsg sendmsg(MSG_DEALLOC_VGPRS)
	s_endpgm
	.section	.rodata,"a",@progbits
	.p2align	6, 0x0
	.amdhsa_kernel fft_rtc_back_len2028_factors_13_4_3_13_wgs_156_tpt_156_dp_op_CI_CI_unitstride_sbrr_C2R_dirReg
		.amdhsa_group_segment_fixed_size 0
		.amdhsa_private_segment_fixed_size 0
		.amdhsa_kernarg_size 104
		.amdhsa_user_sgpr_count 15
		.amdhsa_user_sgpr_dispatch_ptr 0
		.amdhsa_user_sgpr_queue_ptr 0
		.amdhsa_user_sgpr_kernarg_segment_ptr 1
		.amdhsa_user_sgpr_dispatch_id 0
		.amdhsa_user_sgpr_private_segment_size 0
		.amdhsa_wavefront_size32 1
		.amdhsa_uses_dynamic_stack 0
		.amdhsa_enable_private_segment 0
		.amdhsa_system_sgpr_workgroup_id_x 1
		.amdhsa_system_sgpr_workgroup_id_y 0
		.amdhsa_system_sgpr_workgroup_id_z 0
		.amdhsa_system_sgpr_workgroup_info 0
		.amdhsa_system_vgpr_workitem_id 0
		.amdhsa_next_free_vgpr 255
		.amdhsa_next_free_sgpr 44
		.amdhsa_reserve_vcc 1
		.amdhsa_float_round_mode_32 0
		.amdhsa_float_round_mode_16_64 0
		.amdhsa_float_denorm_mode_32 3
		.amdhsa_float_denorm_mode_16_64 3
		.amdhsa_dx10_clamp 1
		.amdhsa_ieee_mode 1
		.amdhsa_fp16_overflow 0
		.amdhsa_workgroup_processor_mode 1
		.amdhsa_memory_ordered 1
		.amdhsa_forward_progress 0
		.amdhsa_shared_vgpr_count 0
		.amdhsa_exception_fp_ieee_invalid_op 0
		.amdhsa_exception_fp_denorm_src 0
		.amdhsa_exception_fp_ieee_div_zero 0
		.amdhsa_exception_fp_ieee_overflow 0
		.amdhsa_exception_fp_ieee_underflow 0
		.amdhsa_exception_fp_ieee_inexact 0
		.amdhsa_exception_int_div_zero 0
	.end_amdhsa_kernel
	.text
.Lfunc_end0:
	.size	fft_rtc_back_len2028_factors_13_4_3_13_wgs_156_tpt_156_dp_op_CI_CI_unitstride_sbrr_C2R_dirReg, .Lfunc_end0-fft_rtc_back_len2028_factors_13_4_3_13_wgs_156_tpt_156_dp_op_CI_CI_unitstride_sbrr_C2R_dirReg
                                        ; -- End function
	.section	.AMDGPU.csdata,"",@progbits
; Kernel info:
; codeLenInByte = 16108
; NumSgprs: 46
; NumVgprs: 255
; ScratchSize: 0
; MemoryBound: 0
; FloatMode: 240
; IeeeMode: 1
; LDSByteSize: 0 bytes/workgroup (compile time only)
; SGPRBlocks: 5
; VGPRBlocks: 31
; NumSGPRsForWavesPerEU: 46
; NumVGPRsForWavesPerEU: 255
; Occupancy: 5
; WaveLimiterHint : 1
; COMPUTE_PGM_RSRC2:SCRATCH_EN: 0
; COMPUTE_PGM_RSRC2:USER_SGPR: 15
; COMPUTE_PGM_RSRC2:TRAP_HANDLER: 0
; COMPUTE_PGM_RSRC2:TGID_X_EN: 1
; COMPUTE_PGM_RSRC2:TGID_Y_EN: 0
; COMPUTE_PGM_RSRC2:TGID_Z_EN: 0
; COMPUTE_PGM_RSRC2:TIDIG_COMP_CNT: 0
	.text
	.p2alignl 7, 3214868480
	.fill 96, 4, 3214868480
	.type	__hip_cuid_8eebc229022a78cd,@object ; @__hip_cuid_8eebc229022a78cd
	.section	.bss,"aw",@nobits
	.globl	__hip_cuid_8eebc229022a78cd
__hip_cuid_8eebc229022a78cd:
	.byte	0                               ; 0x0
	.size	__hip_cuid_8eebc229022a78cd, 1

	.ident	"AMD clang version 19.0.0git (https://github.com/RadeonOpenCompute/llvm-project roc-6.4.0 25133 c7fe45cf4b819c5991fe208aaa96edf142730f1d)"
	.section	".note.GNU-stack","",@progbits
	.addrsig
	.addrsig_sym __hip_cuid_8eebc229022a78cd
	.amdgpu_metadata
---
amdhsa.kernels:
  - .args:
      - .actual_access:  read_only
        .address_space:  global
        .offset:         0
        .size:           8
        .value_kind:     global_buffer
      - .offset:         8
        .size:           8
        .value_kind:     by_value
      - .actual_access:  read_only
        .address_space:  global
        .offset:         16
        .size:           8
        .value_kind:     global_buffer
      - .actual_access:  read_only
        .address_space:  global
        .offset:         24
        .size:           8
        .value_kind:     global_buffer
      - .actual_access:  read_only
        .address_space:  global
        .offset:         32
        .size:           8
        .value_kind:     global_buffer
      - .offset:         40
        .size:           8
        .value_kind:     by_value
      - .actual_access:  read_only
        .address_space:  global
        .offset:         48
        .size:           8
        .value_kind:     global_buffer
      - .actual_access:  read_only
        .address_space:  global
        .offset:         56
        .size:           8
        .value_kind:     global_buffer
      - .offset:         64
        .size:           4
        .value_kind:     by_value
      - .actual_access:  read_only
        .address_space:  global
        .offset:         72
        .size:           8
        .value_kind:     global_buffer
      - .actual_access:  read_only
        .address_space:  global
        .offset:         80
        .size:           8
        .value_kind:     global_buffer
      - .actual_access:  read_only
        .address_space:  global
        .offset:         88
        .size:           8
        .value_kind:     global_buffer
      - .actual_access:  write_only
        .address_space:  global
        .offset:         96
        .size:           8
        .value_kind:     global_buffer
    .group_segment_fixed_size: 0
    .kernarg_segment_align: 8
    .kernarg_segment_size: 104
    .language:       OpenCL C
    .language_version:
      - 2
      - 0
    .max_flat_workgroup_size: 156
    .name:           fft_rtc_back_len2028_factors_13_4_3_13_wgs_156_tpt_156_dp_op_CI_CI_unitstride_sbrr_C2R_dirReg
    .private_segment_fixed_size: 0
    .sgpr_count:     46
    .sgpr_spill_count: 0
    .symbol:         fft_rtc_back_len2028_factors_13_4_3_13_wgs_156_tpt_156_dp_op_CI_CI_unitstride_sbrr_C2R_dirReg.kd
    .uniform_work_group_size: 1
    .uses_dynamic_stack: false
    .vgpr_count:     255
    .vgpr_spill_count: 0
    .wavefront_size: 32
    .workgroup_processor_mode: 1
amdhsa.target:   amdgcn-amd-amdhsa--gfx1100
amdhsa.version:
  - 1
  - 2
...

	.end_amdgpu_metadata
